;; amdgpu-corpus repo=ROCm/rocSPARSE kind=compiled arch=gfx950 opt=O3
	.amdgcn_target "amdgcn-amd-amdhsa--gfx950"
	.amdhsa_code_object_version 6
	.section	.text._ZN9rocsparseL26bsrpad_value_kernel_sortedILi1024EfEEviiiT0_21rocsparse_index_base_PS1_PKiS5_,"axG",@progbits,_ZN9rocsparseL26bsrpad_value_kernel_sortedILi1024EfEEviiiT0_21rocsparse_index_base_PS1_PKiS5_,comdat
	.globl	_ZN9rocsparseL26bsrpad_value_kernel_sortedILi1024EfEEviiiT0_21rocsparse_index_base_PS1_PKiS5_ ; -- Begin function _ZN9rocsparseL26bsrpad_value_kernel_sortedILi1024EfEEviiiT0_21rocsparse_index_base_PS1_PKiS5_
	.p2align	8
	.type	_ZN9rocsparseL26bsrpad_value_kernel_sortedILi1024EfEEviiiT0_21rocsparse_index_base_PS1_PKiS5_,@function
_ZN9rocsparseL26bsrpad_value_kernel_sortedILi1024EfEEviiiT0_21rocsparse_index_base_PS1_PKiS5_: ; @_ZN9rocsparseL26bsrpad_value_kernel_sortedILi1024EfEEviiiT0_21rocsparse_index_base_PS1_PKiS5_
; %bb.0:
	s_load_dwordx4 s[4:7], s[0:1], 0x0
	s_load_dwordx2 s[8:9], s[0:1], 0x20
	s_load_dword s10, s[0:1], 0x10
	s_waitcnt lgkmcnt(0)
	s_ashr_i32 s13, s5, 31
	s_mov_b32 s12, s5
	s_lshl_b64 s[12:13], s[12:13], 2
	s_add_u32 s3, s8, s12
	s_addc_u32 s8, s9, s13
	s_add_u32 s12, s3, -4
	s_addc_u32 s13, s8, -1
	s_load_dwordx2 s[8:9], s[12:13], 0x0
	s_waitcnt lgkmcnt(0)
	s_sub_i32 s3, s9, s8
	s_cmp_lt_i32 s3, 1
	s_mov_b32 s3, -1
	s_cbranch_scc1 .LBB0_2
; %bb.1:
	s_load_dwordx2 s[12:13], s[0:1], 0x28
	s_add_i32 s3, s5, -1
	s_not_b32 s5, s10
	s_add_i32 s8, s9, s5
	s_ashr_i32 s9, s8, 31
	s_lshl_b64 s[14:15], s[8:9], 2
	s_waitcnt lgkmcnt(0)
	s_add_u32 s12, s12, s14
	s_addc_u32 s13, s13, s15
	s_load_dword s5, s[12:13], 0x0
	s_waitcnt lgkmcnt(0)
	s_sub_i32 s5, s5, s10
	s_cmp_eq_u32 s5, s3
	s_cselect_b32 s3, s8, -1
.LBB0_2:
	v_lshl_or_b32 v0, s2, 10, v0
	s_cmp_gt_i32 s3, -1
	s_cselect_b64 s[8:9], -1, 0
	v_cmp_gt_i32_e32 vcc, s6, v0
	s_and_b64 s[8:9], s[8:9], vcc
	s_and_saveexec_b64 s[10:11], s[8:9]
	s_cbranch_execz .LBB0_5
; %bb.3:
	s_abs_i32 s2, s6
	v_cvt_f32_u32_e32 v1, s2
	s_sub_i32 s8, 0, s2
	s_ashr_i32 s5, s4, 31
	s_abs_i32 s4, s4
	v_rcp_iflag_f32_e32 v1, v1
	s_nop 0
	v_mul_f32_e32 v1, 0x4f7ffffe, v1
	v_cvt_u32_f32_e32 v1, v1
	s_nop 0
	v_readfirstlane_b32 s9, v1
	s_mul_i32 s8, s8, s9
	s_mul_hi_u32 s8, s9, s8
	s_add_i32 s9, s9, s8
	s_mul_hi_u32 s8, s4, s9
	s_mul_i32 s8, s8, s2
	s_sub_i32 s4, s4, s8
	s_sub_i32 s8, s4, s2
	s_cmp_ge_u32 s4, s2
	s_cselect_b32 s4, s8, s4
	s_sub_i32 s8, s4, s2
	s_cmp_ge_u32 s4, s2
	s_cselect_b32 s2, s8, s4
	s_xor_b32 s2, s2, s5
	s_sub_i32 s2, s2, s5
	s_cmp_gt_i32 s2, 0
	s_cselect_b64 s[4:5], -1, 0
	v_cmp_le_i32_e32 vcc, s2, v0
	s_and_b64 s[4:5], s[4:5], vcc
	s_and_b64 exec, exec, s[4:5]
	s_cbranch_execz .LBB0_5
; %bb.4:
	s_load_dwordx2 s[0:1], s[0:1], 0x18
	s_mul_i32 s2, s3, s6
	v_add_u32_e32 v1, s2, v0
	v_mad_u64_u32 v[0:1], s[2:3], v1, s6, v[0:1]
	v_ashrrev_i32_e32 v1, 31, v0
	s_waitcnt lgkmcnt(0)
	v_lshl_add_u64 v[0:1], v[0:1], 2, s[0:1]
	v_mov_b32_e32 v2, s7
	global_store_dword v[0:1], v2, off
.LBB0_5:
	s_endpgm
	.section	.rodata,"a",@progbits
	.p2align	6, 0x0
	.amdhsa_kernel _ZN9rocsparseL26bsrpad_value_kernel_sortedILi1024EfEEviiiT0_21rocsparse_index_base_PS1_PKiS5_
		.amdhsa_group_segment_fixed_size 0
		.amdhsa_private_segment_fixed_size 0
		.amdhsa_kernarg_size 48
		.amdhsa_user_sgpr_count 2
		.amdhsa_user_sgpr_dispatch_ptr 0
		.amdhsa_user_sgpr_queue_ptr 0
		.amdhsa_user_sgpr_kernarg_segment_ptr 1
		.amdhsa_user_sgpr_dispatch_id 0
		.amdhsa_user_sgpr_kernarg_preload_length 0
		.amdhsa_user_sgpr_kernarg_preload_offset 0
		.amdhsa_user_sgpr_private_segment_size 0
		.amdhsa_uses_dynamic_stack 0
		.amdhsa_enable_private_segment 0
		.amdhsa_system_sgpr_workgroup_id_x 1
		.amdhsa_system_sgpr_workgroup_id_y 0
		.amdhsa_system_sgpr_workgroup_id_z 0
		.amdhsa_system_sgpr_workgroup_info 0
		.amdhsa_system_vgpr_workitem_id 0
		.amdhsa_next_free_vgpr 3
		.amdhsa_next_free_sgpr 16
		.amdhsa_accum_offset 4
		.amdhsa_reserve_vcc 1
		.amdhsa_float_round_mode_32 0
		.amdhsa_float_round_mode_16_64 0
		.amdhsa_float_denorm_mode_32 3
		.amdhsa_float_denorm_mode_16_64 3
		.amdhsa_dx10_clamp 1
		.amdhsa_ieee_mode 1
		.amdhsa_fp16_overflow 0
		.amdhsa_tg_split 0
		.amdhsa_exception_fp_ieee_invalid_op 0
		.amdhsa_exception_fp_denorm_src 0
		.amdhsa_exception_fp_ieee_div_zero 0
		.amdhsa_exception_fp_ieee_overflow 0
		.amdhsa_exception_fp_ieee_underflow 0
		.amdhsa_exception_fp_ieee_inexact 0
		.amdhsa_exception_int_div_zero 0
	.end_amdhsa_kernel
	.section	.text._ZN9rocsparseL26bsrpad_value_kernel_sortedILi1024EfEEviiiT0_21rocsparse_index_base_PS1_PKiS5_,"axG",@progbits,_ZN9rocsparseL26bsrpad_value_kernel_sortedILi1024EfEEviiiT0_21rocsparse_index_base_PS1_PKiS5_,comdat
.Lfunc_end0:
	.size	_ZN9rocsparseL26bsrpad_value_kernel_sortedILi1024EfEEviiiT0_21rocsparse_index_base_PS1_PKiS5_, .Lfunc_end0-_ZN9rocsparseL26bsrpad_value_kernel_sortedILi1024EfEEviiiT0_21rocsparse_index_base_PS1_PKiS5_
                                        ; -- End function
	.set _ZN9rocsparseL26bsrpad_value_kernel_sortedILi1024EfEEviiiT0_21rocsparse_index_base_PS1_PKiS5_.num_vgpr, 3
	.set _ZN9rocsparseL26bsrpad_value_kernel_sortedILi1024EfEEviiiT0_21rocsparse_index_base_PS1_PKiS5_.num_agpr, 0
	.set _ZN9rocsparseL26bsrpad_value_kernel_sortedILi1024EfEEviiiT0_21rocsparse_index_base_PS1_PKiS5_.numbered_sgpr, 16
	.set _ZN9rocsparseL26bsrpad_value_kernel_sortedILi1024EfEEviiiT0_21rocsparse_index_base_PS1_PKiS5_.num_named_barrier, 0
	.set _ZN9rocsparseL26bsrpad_value_kernel_sortedILi1024EfEEviiiT0_21rocsparse_index_base_PS1_PKiS5_.private_seg_size, 0
	.set _ZN9rocsparseL26bsrpad_value_kernel_sortedILi1024EfEEviiiT0_21rocsparse_index_base_PS1_PKiS5_.uses_vcc, 1
	.set _ZN9rocsparseL26bsrpad_value_kernel_sortedILi1024EfEEviiiT0_21rocsparse_index_base_PS1_PKiS5_.uses_flat_scratch, 0
	.set _ZN9rocsparseL26bsrpad_value_kernel_sortedILi1024EfEEviiiT0_21rocsparse_index_base_PS1_PKiS5_.has_dyn_sized_stack, 0
	.set _ZN9rocsparseL26bsrpad_value_kernel_sortedILi1024EfEEviiiT0_21rocsparse_index_base_PS1_PKiS5_.has_recursion, 0
	.set _ZN9rocsparseL26bsrpad_value_kernel_sortedILi1024EfEEviiiT0_21rocsparse_index_base_PS1_PKiS5_.has_indirect_call, 0
	.section	.AMDGPU.csdata,"",@progbits
; Kernel info:
; codeLenInByte = 364
; TotalNumSgprs: 22
; NumVgprs: 3
; NumAgprs: 0
; TotalNumVgprs: 3
; ScratchSize: 0
; MemoryBound: 0
; FloatMode: 240
; IeeeMode: 1
; LDSByteSize: 0 bytes/workgroup (compile time only)
; SGPRBlocks: 2
; VGPRBlocks: 0
; NumSGPRsForWavesPerEU: 22
; NumVGPRsForWavesPerEU: 3
; AccumOffset: 4
; Occupancy: 8
; WaveLimiterHint : 1
; COMPUTE_PGM_RSRC2:SCRATCH_EN: 0
; COMPUTE_PGM_RSRC2:USER_SGPR: 2
; COMPUTE_PGM_RSRC2:TRAP_HANDLER: 0
; COMPUTE_PGM_RSRC2:TGID_X_EN: 1
; COMPUTE_PGM_RSRC2:TGID_Y_EN: 0
; COMPUTE_PGM_RSRC2:TGID_Z_EN: 0
; COMPUTE_PGM_RSRC2:TIDIG_COMP_CNT: 0
; COMPUTE_PGM_RSRC3_GFX90A:ACCUM_OFFSET: 0
; COMPUTE_PGM_RSRC3_GFX90A:TG_SPLIT: 0
	.section	.text._ZN9rocsparseL28bsrpad_value_kernel_unsortedILi1024EfEEviiiT0_21rocsparse_index_base_PS1_PKiS5_,"axG",@progbits,_ZN9rocsparseL28bsrpad_value_kernel_unsortedILi1024EfEEviiiT0_21rocsparse_index_base_PS1_PKiS5_,comdat
	.globl	_ZN9rocsparseL28bsrpad_value_kernel_unsortedILi1024EfEEviiiT0_21rocsparse_index_base_PS1_PKiS5_ ; -- Begin function _ZN9rocsparseL28bsrpad_value_kernel_unsortedILi1024EfEEviiiT0_21rocsparse_index_base_PS1_PKiS5_
	.p2align	8
	.type	_ZN9rocsparseL28bsrpad_value_kernel_unsortedILi1024EfEEviiiT0_21rocsparse_index_base_PS1_PKiS5_,@function
_ZN9rocsparseL28bsrpad_value_kernel_unsortedILi1024EfEEviiiT0_21rocsparse_index_base_PS1_PKiS5_: ; @_ZN9rocsparseL28bsrpad_value_kernel_unsortedILi1024EfEEviiiT0_21rocsparse_index_base_PS1_PKiS5_
; %bb.0:
	s_load_dwordx2 s[4:5], s[0:1], 0x20
	v_cmp_eq_u32_e32 vcc, 0, v0
	s_and_saveexec_b64 s[6:7], vcc
; %bb.1:
	v_mov_b32_e32 v1, -1
	v_mov_b32_e32 v2, 0
	ds_write_b32 v2, v1
; %bb.2:
	s_or_b64 exec, exec, s[6:7]
	s_load_dwordx4 s[8:11], s[0:1], 0x0
	s_load_dword s3, s[0:1], 0x10
	s_waitcnt lgkmcnt(0)
	s_ashr_i32 s7, s9, 31
	s_mov_b32 s6, s9
	s_lshl_b64 s[6:7], s[6:7], 2
	s_add_u32 s4, s4, s6
	s_addc_u32 s5, s5, s7
	s_add_u32 s6, s4, -4
	s_addc_u32 s7, s5, -1
	s_load_dwordx2 s[4:5], s[6:7], 0x0
	v_subrev_u32_e32 v1, s3, v0
	s_waitcnt lgkmcnt(0)
	s_barrier
	s_sub_i32 s18, s5, s3
	v_add_u32_e32 v2, s4, v1
	v_cmp_gt_i32_e32 vcc, s18, v2
	s_and_saveexec_b64 s[6:7], vcc
	s_cbranch_execz .LBB1_14
; %bb.3:
	v_add_u32_e32 v1, s4, v0
	v_subrev_u32_e32 v1, s3, v1
	s_load_dwordx2 s[12:13], s[0:1], 0x28
	v_add_u32_e32 v1, 0x400, v1
	v_max_i32_e32 v1, s18, v1
	v_not_b32_e32 v3, v0
	v_add3_u32 v1, s3, v1, v3
	v_subrev_u32_e32 v1, s4, v1
	s_movk_i32 s4, 0x3ff
	s_add_i32 s9, s9, -1
	v_cmp_lt_u32_e32 vcc, s4, v1
	s_mov_b64 s[4:5], -1
	s_and_saveexec_b64 s[14:15], vcc
	s_cbranch_execz .LBB1_9
; %bb.4:
	v_lshrrev_b32_e32 v1, 10, v1
	v_add_u32_e32 v1, 1, v1
	v_and_b32_e32 v6, 0x7ffffe, v1
	v_add_u32_e32 v3, 0x400, v2
	s_mov_b32 s19, s3
	s_mov_b32 s20, s9
	s_mov_b64 s[16:17], 0
	v_mov_b32_e32 v7, 0
	v_mov_b32_e32 v8, v6
	;; [unrolled: 1-line block ×3, first 2 shown]
	v_mov_b64_e32 v[4:5], v[2:3]
	s_branch .LBB1_6
.LBB1_5:                                ;   in Loop: Header=BB1_6 Depth=1
	s_or_b64 exec, exec, s[4:5]
	v_add_u32_e32 v8, -2, v8
	v_cmp_eq_u32_e32 vcc, 0, v8
	v_add_u32_e32 v5, 0x800, v5
	v_add_u32_e32 v4, 0x800, v4
	s_or_b64 s[16:17], vcc, s[16:17]
	v_add_u32_e32 v9, 0x800, v9
	s_andn2_b64 exec, exec, s[16:17]
	s_cbranch_execz .LBB1_8
.LBB1_6:                                ; =>This Inner Loop Header: Depth=1
	v_ashrrev_i32_e32 v13, 31, v4
	v_mov_b32_e32 v12, v4
	v_ashrrev_i32_e32 v11, 31, v5
	v_mov_b32_e32 v10, v5
	s_waitcnt lgkmcnt(0)
	v_lshl_add_u64 v[12:13], v[12:13], 2, s[12:13]
	v_lshl_add_u64 v[10:11], v[10:11], 2, s[12:13]
	global_load_dword v3, v[12:13], off
	global_load_dword v14, v[10:11], off
	s_waitcnt vmcnt(1)
	v_subrev_u32_e32 v3, s3, v3
	s_waitcnt vmcnt(0)
	v_subrev_u32_e32 v10, s19, v14
	v_cmp_eq_u32_e32 vcc, s20, v10
	v_cmp_eq_u32_e64 s[4:5], s9, v3
	s_or_b64 s[22:23], s[4:5], vcc
	s_and_saveexec_b64 s[4:5], s[22:23]
	s_cbranch_execz .LBB1_5
; %bb.7:                                ;   in Loop: Header=BB1_6 Depth=1
	v_add_u32_e32 v3, 0x400, v9
	v_cndmask_b32_e32 v3, v9, v3, vcc
	ds_write_b32 v7, v3
	s_branch .LBB1_5
.LBB1_8:
	s_or_b64 exec, exec, s[16:17]
	v_cmp_ne_u32_e32 vcc, v1, v6
	v_lshl_add_u32 v2, v6, 10, v2
	s_orn2_b64 s[4:5], vcc, exec
.LBB1_9:
	s_or_b64 exec, exec, s[14:15]
	s_and_b64 exec, exec, s[4:5]
	s_cbranch_execz .LBB1_14
; %bb.10:
	v_ashrrev_i32_e32 v3, 31, v2
	s_waitcnt lgkmcnt(0)
	v_lshl_add_u64 v[4:5], v[2:3], 2, s[12:13]
	s_mov_b64 s[4:5], 0
	v_mov_b32_e32 v1, 0
	s_mov_b64 s[12:13], 0x1000
	s_branch .LBB1_12
.LBB1_11:                               ;   in Loop: Header=BB1_12 Depth=1
	s_or_b64 exec, exec, s[14:15]
	v_add_u32_e32 v2, 0x400, v2
	v_cmp_le_i32_e32 vcc, s18, v2
	s_or_b64 s[4:5], vcc, s[4:5]
	v_lshl_add_u64 v[4:5], v[4:5], 0, s[12:13]
	s_andn2_b64 exec, exec, s[4:5]
	s_cbranch_execz .LBB1_14
.LBB1_12:                               ; =>This Inner Loop Header: Depth=1
	global_load_dword v3, v[4:5], off
	s_waitcnt vmcnt(0)
	v_subrev_u32_e32 v3, s3, v3
	v_cmp_eq_u32_e32 vcc, s9, v3
	s_and_saveexec_b64 s[14:15], vcc
	s_cbranch_execz .LBB1_11
; %bb.13:                               ;   in Loop: Header=BB1_12 Depth=1
	ds_write_b32 v1, v2
	s_branch .LBB1_11
.LBB1_14:
	s_or_b64 exec, exec, s[6:7]
	v_mov_b32_e32 v1, 0
	s_waitcnt lgkmcnt(0)
	s_barrier
	ds_read_b32 v1, v1
	v_lshl_or_b32 v0, s2, 10, v0
	v_cmp_gt_i32_e32 vcc, s10, v0
	s_waitcnt lgkmcnt(0)
	v_readfirstlane_b32 s2, v1
	s_cmp_gt_i32 s2, -1
	s_cselect_b64 s[2:3], -1, 0
	s_and_b64 s[2:3], s[2:3], vcc
	s_and_saveexec_b64 s[4:5], s[2:3]
	s_cbranch_execz .LBB1_17
; %bb.15:
	s_abs_i32 s2, s10
	v_cvt_f32_u32_e32 v2, s2
	s_sub_i32 s5, 0, s2
	s_abs_i32 s4, s8
	s_ashr_i32 s3, s8, 31
	v_rcp_iflag_f32_e32 v2, v2
	s_nop 0
	v_mul_f32_e32 v2, 0x4f7ffffe, v2
	v_cvt_u32_f32_e32 v2, v2
	s_nop 0
	v_readfirstlane_b32 s6, v2
	s_mul_i32 s5, s5, s6
	s_mul_hi_u32 s5, s6, s5
	s_add_i32 s6, s6, s5
	s_mul_hi_u32 s5, s4, s6
	s_mul_i32 s5, s5, s2
	s_sub_i32 s4, s4, s5
	s_sub_i32 s5, s4, s2
	s_cmp_ge_u32 s4, s2
	s_cselect_b32 s4, s5, s4
	s_sub_i32 s5, s4, s2
	s_cmp_ge_u32 s4, s2
	s_cselect_b32 s2, s5, s4
	s_xor_b32 s2, s2, s3
	s_sub_i32 s4, s2, s3
	s_cmp_gt_i32 s4, 0
	s_cselect_b64 s[2:3], -1, 0
	v_cmp_le_i32_e32 vcc, s4, v0
	s_and_b64 s[2:3], s[2:3], vcc
	s_and_b64 exec, exec, s[2:3]
	s_cbranch_execz .LBB1_17
; %bb.16:
	s_load_dwordx2 s[0:1], s[0:1], 0x18
	v_mul_lo_u32 v1, v1, s10
	v_add_u32_e32 v1, v1, v0
	v_mad_u64_u32 v[0:1], s[2:3], v1, s10, v[0:1]
	v_ashrrev_i32_e32 v1, 31, v0
	s_waitcnt lgkmcnt(0)
	v_lshl_add_u64 v[0:1], v[0:1], 2, s[0:1]
	v_mov_b32_e32 v2, s11
	global_store_dword v[0:1], v2, off
.LBB1_17:
	s_endpgm
	.section	.rodata,"a",@progbits
	.p2align	6, 0x0
	.amdhsa_kernel _ZN9rocsparseL28bsrpad_value_kernel_unsortedILi1024EfEEviiiT0_21rocsparse_index_base_PS1_PKiS5_
		.amdhsa_group_segment_fixed_size 4
		.amdhsa_private_segment_fixed_size 0
		.amdhsa_kernarg_size 48
		.amdhsa_user_sgpr_count 2
		.amdhsa_user_sgpr_dispatch_ptr 0
		.amdhsa_user_sgpr_queue_ptr 0
		.amdhsa_user_sgpr_kernarg_segment_ptr 1
		.amdhsa_user_sgpr_dispatch_id 0
		.amdhsa_user_sgpr_kernarg_preload_length 0
		.amdhsa_user_sgpr_kernarg_preload_offset 0
		.amdhsa_user_sgpr_private_segment_size 0
		.amdhsa_uses_dynamic_stack 0
		.amdhsa_enable_private_segment 0
		.amdhsa_system_sgpr_workgroup_id_x 1
		.amdhsa_system_sgpr_workgroup_id_y 0
		.amdhsa_system_sgpr_workgroup_id_z 0
		.amdhsa_system_sgpr_workgroup_info 0
		.amdhsa_system_vgpr_workitem_id 0
		.amdhsa_next_free_vgpr 15
		.amdhsa_next_free_sgpr 24
		.amdhsa_accum_offset 16
		.amdhsa_reserve_vcc 1
		.amdhsa_float_round_mode_32 0
		.amdhsa_float_round_mode_16_64 0
		.amdhsa_float_denorm_mode_32 3
		.amdhsa_float_denorm_mode_16_64 3
		.amdhsa_dx10_clamp 1
		.amdhsa_ieee_mode 1
		.amdhsa_fp16_overflow 0
		.amdhsa_tg_split 0
		.amdhsa_exception_fp_ieee_invalid_op 0
		.amdhsa_exception_fp_denorm_src 0
		.amdhsa_exception_fp_ieee_div_zero 0
		.amdhsa_exception_fp_ieee_overflow 0
		.amdhsa_exception_fp_ieee_underflow 0
		.amdhsa_exception_fp_ieee_inexact 0
		.amdhsa_exception_int_div_zero 0
	.end_amdhsa_kernel
	.section	.text._ZN9rocsparseL28bsrpad_value_kernel_unsortedILi1024EfEEviiiT0_21rocsparse_index_base_PS1_PKiS5_,"axG",@progbits,_ZN9rocsparseL28bsrpad_value_kernel_unsortedILi1024EfEEviiiT0_21rocsparse_index_base_PS1_PKiS5_,comdat
.Lfunc_end1:
	.size	_ZN9rocsparseL28bsrpad_value_kernel_unsortedILi1024EfEEviiiT0_21rocsparse_index_base_PS1_PKiS5_, .Lfunc_end1-_ZN9rocsparseL28bsrpad_value_kernel_unsortedILi1024EfEEviiiT0_21rocsparse_index_base_PS1_PKiS5_
                                        ; -- End function
	.set _ZN9rocsparseL28bsrpad_value_kernel_unsortedILi1024EfEEviiiT0_21rocsparse_index_base_PS1_PKiS5_.num_vgpr, 15
	.set _ZN9rocsparseL28bsrpad_value_kernel_unsortedILi1024EfEEviiiT0_21rocsparse_index_base_PS1_PKiS5_.num_agpr, 0
	.set _ZN9rocsparseL28bsrpad_value_kernel_unsortedILi1024EfEEviiiT0_21rocsparse_index_base_PS1_PKiS5_.numbered_sgpr, 24
	.set _ZN9rocsparseL28bsrpad_value_kernel_unsortedILi1024EfEEviiiT0_21rocsparse_index_base_PS1_PKiS5_.num_named_barrier, 0
	.set _ZN9rocsparseL28bsrpad_value_kernel_unsortedILi1024EfEEviiiT0_21rocsparse_index_base_PS1_PKiS5_.private_seg_size, 0
	.set _ZN9rocsparseL28bsrpad_value_kernel_unsortedILi1024EfEEviiiT0_21rocsparse_index_base_PS1_PKiS5_.uses_vcc, 1
	.set _ZN9rocsparseL28bsrpad_value_kernel_unsortedILi1024EfEEviiiT0_21rocsparse_index_base_PS1_PKiS5_.uses_flat_scratch, 0
	.set _ZN9rocsparseL28bsrpad_value_kernel_unsortedILi1024EfEEviiiT0_21rocsparse_index_base_PS1_PKiS5_.has_dyn_sized_stack, 0
	.set _ZN9rocsparseL28bsrpad_value_kernel_unsortedILi1024EfEEviiiT0_21rocsparse_index_base_PS1_PKiS5_.has_recursion, 0
	.set _ZN9rocsparseL28bsrpad_value_kernel_unsortedILi1024EfEEviiiT0_21rocsparse_index_base_PS1_PKiS5_.has_indirect_call, 0
	.section	.AMDGPU.csdata,"",@progbits
; Kernel info:
; codeLenInByte = 808
; TotalNumSgprs: 30
; NumVgprs: 15
; NumAgprs: 0
; TotalNumVgprs: 15
; ScratchSize: 0
; MemoryBound: 0
; FloatMode: 240
; IeeeMode: 1
; LDSByteSize: 4 bytes/workgroup (compile time only)
; SGPRBlocks: 3
; VGPRBlocks: 1
; NumSGPRsForWavesPerEU: 30
; NumVGPRsForWavesPerEU: 15
; AccumOffset: 16
; Occupancy: 8
; WaveLimiterHint : 0
; COMPUTE_PGM_RSRC2:SCRATCH_EN: 0
; COMPUTE_PGM_RSRC2:USER_SGPR: 2
; COMPUTE_PGM_RSRC2:TRAP_HANDLER: 0
; COMPUTE_PGM_RSRC2:TGID_X_EN: 1
; COMPUTE_PGM_RSRC2:TGID_Y_EN: 0
; COMPUTE_PGM_RSRC2:TGID_Z_EN: 0
; COMPUTE_PGM_RSRC2:TIDIG_COMP_CNT: 0
; COMPUTE_PGM_RSRC3_GFX90A:ACCUM_OFFSET: 3
; COMPUTE_PGM_RSRC3_GFX90A:TG_SPLIT: 0
	.section	.text._ZN9rocsparseL26bsrpad_value_kernel_sortedILi1024EdEEviiiT0_21rocsparse_index_base_PS1_PKiS5_,"axG",@progbits,_ZN9rocsparseL26bsrpad_value_kernel_sortedILi1024EdEEviiiT0_21rocsparse_index_base_PS1_PKiS5_,comdat
	.globl	_ZN9rocsparseL26bsrpad_value_kernel_sortedILi1024EdEEviiiT0_21rocsparse_index_base_PS1_PKiS5_ ; -- Begin function _ZN9rocsparseL26bsrpad_value_kernel_sortedILi1024EdEEviiiT0_21rocsparse_index_base_PS1_PKiS5_
	.p2align	8
	.type	_ZN9rocsparseL26bsrpad_value_kernel_sortedILi1024EdEEviiiT0_21rocsparse_index_base_PS1_PKiS5_,@function
_ZN9rocsparseL26bsrpad_value_kernel_sortedILi1024EdEEviiiT0_21rocsparse_index_base_PS1_PKiS5_: ; @_ZN9rocsparseL26bsrpad_value_kernel_sortedILi1024EdEEviiiT0_21rocsparse_index_base_PS1_PKiS5_
; %bb.0:
	s_load_dwordx4 s[4:7], s[0:1], 0x0
	s_load_dwordx2 s[8:9], s[0:1], 0x28
	s_waitcnt lgkmcnt(0)
	s_ashr_i32 s11, s5, 31
	s_mov_b32 s10, s5
	s_lshl_b64 s[10:11], s[10:11], 2
	s_add_u32 s3, s8, s10
	s_addc_u32 s7, s9, s11
	s_add_u32 s10, s3, -4
	s_addc_u32 s11, s7, -1
	s_load_dwordx2 s[8:9], s[10:11], 0x0
	s_waitcnt lgkmcnt(0)
	s_sub_i32 s3, s9, s8
	s_cmp_lt_i32 s3, 1
	s_mov_b32 s3, -1
	s_cbranch_scc1 .LBB2_2
; %bb.1:
	s_load_dword s3, s[0:1], 0x18
	s_load_dwordx2 s[10:11], s[0:1], 0x30
	s_add_i32 s5, s5, -1
	s_waitcnt lgkmcnt(0)
	s_not_b32 s7, s3
	s_add_i32 s8, s9, s7
	s_ashr_i32 s9, s8, 31
	s_lshl_b64 s[12:13], s[8:9], 2
	s_add_u32 s10, s10, s12
	s_addc_u32 s11, s11, s13
	s_load_dword s7, s[10:11], 0x0
	s_waitcnt lgkmcnt(0)
	s_sub_i32 s3, s7, s3
	s_cmp_eq_u32 s3, s5
	s_cselect_b32 s3, s8, -1
.LBB2_2:
	v_lshl_or_b32 v0, s2, 10, v0
	s_cmp_gt_i32 s3, -1
	s_cselect_b64 s[8:9], -1, 0
	v_cmp_gt_i32_e32 vcc, s6, v0
	s_and_b64 s[8:9], s[8:9], vcc
	s_and_saveexec_b64 s[10:11], s[8:9]
	s_cbranch_execz .LBB2_5
; %bb.3:
	s_abs_i32 s2, s6
	v_cvt_f32_u32_e32 v1, s2
	s_sub_i32 s7, 0, s2
	s_ashr_i32 s5, s4, 31
	s_abs_i32 s4, s4
	v_rcp_iflag_f32_e32 v1, v1
	s_nop 0
	v_mul_f32_e32 v1, 0x4f7ffffe, v1
	v_cvt_u32_f32_e32 v1, v1
	s_nop 0
	v_readfirstlane_b32 s8, v1
	s_mul_i32 s7, s7, s8
	s_mul_hi_u32 s7, s8, s7
	s_add_i32 s8, s8, s7
	s_mul_hi_u32 s7, s4, s8
	s_mul_i32 s7, s7, s2
	s_sub_i32 s4, s4, s7
	s_sub_i32 s7, s4, s2
	s_cmp_ge_u32 s4, s2
	s_cselect_b32 s4, s7, s4
	s_sub_i32 s7, s4, s2
	s_cmp_ge_u32 s4, s2
	s_cselect_b32 s2, s7, s4
	s_xor_b32 s2, s2, s5
	s_sub_i32 s2, s2, s5
	s_cmp_gt_i32 s2, 0
	s_cselect_b64 s[4:5], -1, 0
	v_cmp_le_i32_e32 vcc, s2, v0
	s_and_b64 s[4:5], s[4:5], vcc
	s_and_b64 exec, exec, s[4:5]
	s_cbranch_execz .LBB2_5
; %bb.4:
	s_load_dwordx2 s[4:5], s[0:1], 0x20
	s_load_dwordx2 s[8:9], s[0:1], 0x10
	s_mul_i32 s0, s3, s6
	v_add_u32_e32 v1, s0, v0
	v_mad_u64_u32 v[0:1], s[0:1], v1, s6, v[0:1]
	v_ashrrev_i32_e32 v1, 31, v0
	s_waitcnt lgkmcnt(0)
	v_lshl_add_u64 v[0:1], v[0:1], 3, s[4:5]
	v_mov_b64_e32 v[2:3], s[8:9]
	global_store_dwordx2 v[0:1], v[2:3], off
.LBB2_5:
	s_endpgm
	.section	.rodata,"a",@progbits
	.p2align	6, 0x0
	.amdhsa_kernel _ZN9rocsparseL26bsrpad_value_kernel_sortedILi1024EdEEviiiT0_21rocsparse_index_base_PS1_PKiS5_
		.amdhsa_group_segment_fixed_size 0
		.amdhsa_private_segment_fixed_size 0
		.amdhsa_kernarg_size 56
		.amdhsa_user_sgpr_count 2
		.amdhsa_user_sgpr_dispatch_ptr 0
		.amdhsa_user_sgpr_queue_ptr 0
		.amdhsa_user_sgpr_kernarg_segment_ptr 1
		.amdhsa_user_sgpr_dispatch_id 0
		.amdhsa_user_sgpr_kernarg_preload_length 0
		.amdhsa_user_sgpr_kernarg_preload_offset 0
		.amdhsa_user_sgpr_private_segment_size 0
		.amdhsa_uses_dynamic_stack 0
		.amdhsa_enable_private_segment 0
		.amdhsa_system_sgpr_workgroup_id_x 1
		.amdhsa_system_sgpr_workgroup_id_y 0
		.amdhsa_system_sgpr_workgroup_id_z 0
		.amdhsa_system_sgpr_workgroup_info 0
		.amdhsa_system_vgpr_workitem_id 0
		.amdhsa_next_free_vgpr 4
		.amdhsa_next_free_sgpr 14
		.amdhsa_accum_offset 4
		.amdhsa_reserve_vcc 1
		.amdhsa_float_round_mode_32 0
		.amdhsa_float_round_mode_16_64 0
		.amdhsa_float_denorm_mode_32 3
		.amdhsa_float_denorm_mode_16_64 3
		.amdhsa_dx10_clamp 1
		.amdhsa_ieee_mode 1
		.amdhsa_fp16_overflow 0
		.amdhsa_tg_split 0
		.amdhsa_exception_fp_ieee_invalid_op 0
		.amdhsa_exception_fp_denorm_src 0
		.amdhsa_exception_fp_ieee_div_zero 0
		.amdhsa_exception_fp_ieee_overflow 0
		.amdhsa_exception_fp_ieee_underflow 0
		.amdhsa_exception_fp_ieee_inexact 0
		.amdhsa_exception_int_div_zero 0
	.end_amdhsa_kernel
	.section	.text._ZN9rocsparseL26bsrpad_value_kernel_sortedILi1024EdEEviiiT0_21rocsparse_index_base_PS1_PKiS5_,"axG",@progbits,_ZN9rocsparseL26bsrpad_value_kernel_sortedILi1024EdEEviiiT0_21rocsparse_index_base_PS1_PKiS5_,comdat
.Lfunc_end2:
	.size	_ZN9rocsparseL26bsrpad_value_kernel_sortedILi1024EdEEviiiT0_21rocsparse_index_base_PS1_PKiS5_, .Lfunc_end2-_ZN9rocsparseL26bsrpad_value_kernel_sortedILi1024EdEEviiiT0_21rocsparse_index_base_PS1_PKiS5_
                                        ; -- End function
	.set _ZN9rocsparseL26bsrpad_value_kernel_sortedILi1024EdEEviiiT0_21rocsparse_index_base_PS1_PKiS5_.num_vgpr, 4
	.set _ZN9rocsparseL26bsrpad_value_kernel_sortedILi1024EdEEviiiT0_21rocsparse_index_base_PS1_PKiS5_.num_agpr, 0
	.set _ZN9rocsparseL26bsrpad_value_kernel_sortedILi1024EdEEviiiT0_21rocsparse_index_base_PS1_PKiS5_.numbered_sgpr, 14
	.set _ZN9rocsparseL26bsrpad_value_kernel_sortedILi1024EdEEviiiT0_21rocsparse_index_base_PS1_PKiS5_.num_named_barrier, 0
	.set _ZN9rocsparseL26bsrpad_value_kernel_sortedILi1024EdEEviiiT0_21rocsparse_index_base_PS1_PKiS5_.private_seg_size, 0
	.set _ZN9rocsparseL26bsrpad_value_kernel_sortedILi1024EdEEviiiT0_21rocsparse_index_base_PS1_PKiS5_.uses_vcc, 1
	.set _ZN9rocsparseL26bsrpad_value_kernel_sortedILi1024EdEEviiiT0_21rocsparse_index_base_PS1_PKiS5_.uses_flat_scratch, 0
	.set _ZN9rocsparseL26bsrpad_value_kernel_sortedILi1024EdEEviiiT0_21rocsparse_index_base_PS1_PKiS5_.has_dyn_sized_stack, 0
	.set _ZN9rocsparseL26bsrpad_value_kernel_sortedILi1024EdEEviiiT0_21rocsparse_index_base_PS1_PKiS5_.has_recursion, 0
	.set _ZN9rocsparseL26bsrpad_value_kernel_sortedILi1024EdEEviiiT0_21rocsparse_index_base_PS1_PKiS5_.has_indirect_call, 0
	.section	.AMDGPU.csdata,"",@progbits
; Kernel info:
; codeLenInByte = 372
; TotalNumSgprs: 20
; NumVgprs: 4
; NumAgprs: 0
; TotalNumVgprs: 4
; ScratchSize: 0
; MemoryBound: 0
; FloatMode: 240
; IeeeMode: 1
; LDSByteSize: 0 bytes/workgroup (compile time only)
; SGPRBlocks: 2
; VGPRBlocks: 0
; NumSGPRsForWavesPerEU: 20
; NumVGPRsForWavesPerEU: 4
; AccumOffset: 4
; Occupancy: 8
; WaveLimiterHint : 1
; COMPUTE_PGM_RSRC2:SCRATCH_EN: 0
; COMPUTE_PGM_RSRC2:USER_SGPR: 2
; COMPUTE_PGM_RSRC2:TRAP_HANDLER: 0
; COMPUTE_PGM_RSRC2:TGID_X_EN: 1
; COMPUTE_PGM_RSRC2:TGID_Y_EN: 0
; COMPUTE_PGM_RSRC2:TGID_Z_EN: 0
; COMPUTE_PGM_RSRC2:TIDIG_COMP_CNT: 0
; COMPUTE_PGM_RSRC3_GFX90A:ACCUM_OFFSET: 0
; COMPUTE_PGM_RSRC3_GFX90A:TG_SPLIT: 0
	.section	.text._ZN9rocsparseL28bsrpad_value_kernel_unsortedILi1024EdEEviiiT0_21rocsparse_index_base_PS1_PKiS5_,"axG",@progbits,_ZN9rocsparseL28bsrpad_value_kernel_unsortedILi1024EdEEviiiT0_21rocsparse_index_base_PS1_PKiS5_,comdat
	.globl	_ZN9rocsparseL28bsrpad_value_kernel_unsortedILi1024EdEEviiiT0_21rocsparse_index_base_PS1_PKiS5_ ; -- Begin function _ZN9rocsparseL28bsrpad_value_kernel_unsortedILi1024EdEEviiiT0_21rocsparse_index_base_PS1_PKiS5_
	.p2align	8
	.type	_ZN9rocsparseL28bsrpad_value_kernel_unsortedILi1024EdEEviiiT0_21rocsparse_index_base_PS1_PKiS5_,@function
_ZN9rocsparseL28bsrpad_value_kernel_unsortedILi1024EdEEviiiT0_21rocsparse_index_base_PS1_PKiS5_: ; @_ZN9rocsparseL28bsrpad_value_kernel_unsortedILi1024EdEEviiiT0_21rocsparse_index_base_PS1_PKiS5_
; %bb.0:
	s_load_dwordx2 s[4:5], s[0:1], 0x28
	v_cmp_eq_u32_e32 vcc, 0, v0
	s_and_saveexec_b64 s[6:7], vcc
; %bb.1:
	v_mov_b32_e32 v1, -1
	v_mov_b32_e32 v2, 0
	ds_write_b32 v2, v1
; %bb.2:
	s_or_b64 exec, exec, s[6:7]
	s_load_dwordx4 s[8:11], s[0:1], 0x0
	s_load_dword s3, s[0:1], 0x18
	s_waitcnt lgkmcnt(0)
	s_ashr_i32 s7, s9, 31
	s_mov_b32 s6, s9
	s_lshl_b64 s[6:7], s[6:7], 2
	s_add_u32 s4, s4, s6
	s_addc_u32 s5, s5, s7
	s_add_u32 s6, s4, -4
	s_addc_u32 s7, s5, -1
	s_load_dwordx2 s[4:5], s[6:7], 0x0
	v_subrev_u32_e32 v1, s3, v0
	s_waitcnt lgkmcnt(0)
	s_barrier
	s_sub_i32 s11, s5, s3
	v_add_u32_e32 v2, s4, v1
	v_cmp_gt_i32_e32 vcc, s11, v2
	s_and_saveexec_b64 s[6:7], vcc
	s_cbranch_execz .LBB3_14
; %bb.3:
	v_add_u32_e32 v1, s4, v0
	v_subrev_u32_e32 v1, s3, v1
	s_load_dwordx2 s[12:13], s[0:1], 0x30
	v_add_u32_e32 v1, 0x400, v1
	v_max_i32_e32 v1, s11, v1
	v_not_b32_e32 v3, v0
	v_add3_u32 v1, s3, v1, v3
	v_subrev_u32_e32 v1, s4, v1
	s_movk_i32 s4, 0x3ff
	s_add_i32 s9, s9, -1
	v_cmp_lt_u32_e32 vcc, s4, v1
	s_mov_b64 s[4:5], -1
	s_and_saveexec_b64 s[14:15], vcc
	s_cbranch_execz .LBB3_9
; %bb.4:
	v_lshrrev_b32_e32 v1, 10, v1
	v_add_u32_e32 v1, 1, v1
	v_and_b32_e32 v6, 0x7ffffe, v1
	v_add_u32_e32 v3, 0x400, v2
	s_mov_b32 s18, s3
	s_mov_b32 s19, s9
	s_mov_b64 s[16:17], 0
	v_mov_b32_e32 v7, 0
	v_mov_b32_e32 v8, v6
	;; [unrolled: 1-line block ×3, first 2 shown]
	v_mov_b64_e32 v[4:5], v[2:3]
	s_branch .LBB3_6
.LBB3_5:                                ;   in Loop: Header=BB3_6 Depth=1
	s_or_b64 exec, exec, s[4:5]
	v_add_u32_e32 v8, -2, v8
	v_cmp_eq_u32_e32 vcc, 0, v8
	v_add_u32_e32 v5, 0x800, v5
	v_add_u32_e32 v4, 0x800, v4
	s_or_b64 s[16:17], vcc, s[16:17]
	v_add_u32_e32 v9, 0x800, v9
	s_andn2_b64 exec, exec, s[16:17]
	s_cbranch_execz .LBB3_8
.LBB3_6:                                ; =>This Inner Loop Header: Depth=1
	v_ashrrev_i32_e32 v13, 31, v4
	v_mov_b32_e32 v12, v4
	v_ashrrev_i32_e32 v11, 31, v5
	v_mov_b32_e32 v10, v5
	s_waitcnt lgkmcnt(0)
	v_lshl_add_u64 v[12:13], v[12:13], 2, s[12:13]
	v_lshl_add_u64 v[10:11], v[10:11], 2, s[12:13]
	global_load_dword v3, v[12:13], off
	global_load_dword v14, v[10:11], off
	s_waitcnt vmcnt(1)
	v_subrev_u32_e32 v3, s3, v3
	s_waitcnt vmcnt(0)
	v_subrev_u32_e32 v10, s18, v14
	v_cmp_eq_u32_e32 vcc, s19, v10
	v_cmp_eq_u32_e64 s[4:5], s9, v3
	s_or_b64 s[20:21], s[4:5], vcc
	s_and_saveexec_b64 s[4:5], s[20:21]
	s_cbranch_execz .LBB3_5
; %bb.7:                                ;   in Loop: Header=BB3_6 Depth=1
	v_add_u32_e32 v3, 0x400, v9
	v_cndmask_b32_e32 v3, v9, v3, vcc
	ds_write_b32 v7, v3
	s_branch .LBB3_5
.LBB3_8:
	s_or_b64 exec, exec, s[16:17]
	v_cmp_ne_u32_e32 vcc, v1, v6
	v_lshl_add_u32 v2, v6, 10, v2
	s_orn2_b64 s[4:5], vcc, exec
.LBB3_9:
	s_or_b64 exec, exec, s[14:15]
	s_and_b64 exec, exec, s[4:5]
	s_cbranch_execz .LBB3_14
; %bb.10:
	v_ashrrev_i32_e32 v3, 31, v2
	s_waitcnt lgkmcnt(0)
	v_lshl_add_u64 v[4:5], v[2:3], 2, s[12:13]
	s_mov_b64 s[4:5], 0
	v_mov_b32_e32 v1, 0
	s_mov_b64 s[12:13], 0x1000
	s_branch .LBB3_12
.LBB3_11:                               ;   in Loop: Header=BB3_12 Depth=1
	s_or_b64 exec, exec, s[14:15]
	v_add_u32_e32 v2, 0x400, v2
	v_cmp_le_i32_e32 vcc, s11, v2
	s_or_b64 s[4:5], vcc, s[4:5]
	v_lshl_add_u64 v[4:5], v[4:5], 0, s[12:13]
	s_andn2_b64 exec, exec, s[4:5]
	s_cbranch_execz .LBB3_14
.LBB3_12:                               ; =>This Inner Loop Header: Depth=1
	global_load_dword v3, v[4:5], off
	s_waitcnt vmcnt(0)
	v_subrev_u32_e32 v3, s3, v3
	v_cmp_eq_u32_e32 vcc, s9, v3
	s_and_saveexec_b64 s[14:15], vcc
	s_cbranch_execz .LBB3_11
; %bb.13:                               ;   in Loop: Header=BB3_12 Depth=1
	ds_write_b32 v1, v2
	s_branch .LBB3_11
.LBB3_14:
	s_or_b64 exec, exec, s[6:7]
	v_mov_b32_e32 v1, 0
	s_waitcnt lgkmcnt(0)
	s_barrier
	ds_read_b32 v1, v1
	v_lshl_or_b32 v0, s2, 10, v0
	v_cmp_gt_i32_e32 vcc, s10, v0
	s_waitcnt lgkmcnt(0)
	v_readfirstlane_b32 s2, v1
	s_cmp_gt_i32 s2, -1
	s_cselect_b64 s[2:3], -1, 0
	s_and_b64 s[2:3], s[2:3], vcc
	s_and_saveexec_b64 s[4:5], s[2:3]
	s_cbranch_execz .LBB3_17
; %bb.15:
	s_abs_i32 s2, s10
	v_cvt_f32_u32_e32 v2, s2
	s_sub_i32 s5, 0, s2
	s_abs_i32 s4, s8
	s_ashr_i32 s3, s8, 31
	v_rcp_iflag_f32_e32 v2, v2
	s_nop 0
	v_mul_f32_e32 v2, 0x4f7ffffe, v2
	v_cvt_u32_f32_e32 v2, v2
	s_nop 0
	v_readfirstlane_b32 s6, v2
	s_mul_i32 s5, s5, s6
	s_mul_hi_u32 s5, s6, s5
	s_add_i32 s6, s6, s5
	s_mul_hi_u32 s5, s4, s6
	s_mul_i32 s5, s5, s2
	s_sub_i32 s4, s4, s5
	s_sub_i32 s5, s4, s2
	s_cmp_ge_u32 s4, s2
	s_cselect_b32 s4, s5, s4
	s_sub_i32 s5, s4, s2
	s_cmp_ge_u32 s4, s2
	s_cselect_b32 s2, s5, s4
	s_xor_b32 s2, s2, s3
	s_sub_i32 s4, s2, s3
	s_cmp_gt_i32 s4, 0
	s_cselect_b64 s[2:3], -1, 0
	v_cmp_le_i32_e32 vcc, s4, v0
	s_and_b64 s[2:3], s[2:3], vcc
	s_and_b64 exec, exec, s[2:3]
	s_cbranch_execz .LBB3_17
; %bb.16:
	s_load_dwordx2 s[2:3], s[0:1], 0x20
	s_load_dwordx2 s[4:5], s[0:1], 0x10
	v_mul_lo_u32 v1, v1, s10
	v_add_u32_e32 v1, v1, v0
	v_mad_u64_u32 v[0:1], s[0:1], v1, s10, v[0:1]
	v_ashrrev_i32_e32 v1, 31, v0
	s_waitcnt lgkmcnt(0)
	v_lshl_add_u64 v[0:1], v[0:1], 3, s[2:3]
	v_mov_b64_e32 v[2:3], s[4:5]
	global_store_dwordx2 v[0:1], v[2:3], off
.LBB3_17:
	s_endpgm
	.section	.rodata,"a",@progbits
	.p2align	6, 0x0
	.amdhsa_kernel _ZN9rocsparseL28bsrpad_value_kernel_unsortedILi1024EdEEviiiT0_21rocsparse_index_base_PS1_PKiS5_
		.amdhsa_group_segment_fixed_size 4
		.amdhsa_private_segment_fixed_size 0
		.amdhsa_kernarg_size 56
		.amdhsa_user_sgpr_count 2
		.amdhsa_user_sgpr_dispatch_ptr 0
		.amdhsa_user_sgpr_queue_ptr 0
		.amdhsa_user_sgpr_kernarg_segment_ptr 1
		.amdhsa_user_sgpr_dispatch_id 0
		.amdhsa_user_sgpr_kernarg_preload_length 0
		.amdhsa_user_sgpr_kernarg_preload_offset 0
		.amdhsa_user_sgpr_private_segment_size 0
		.amdhsa_uses_dynamic_stack 0
		.amdhsa_enable_private_segment 0
		.amdhsa_system_sgpr_workgroup_id_x 1
		.amdhsa_system_sgpr_workgroup_id_y 0
		.amdhsa_system_sgpr_workgroup_id_z 0
		.amdhsa_system_sgpr_workgroup_info 0
		.amdhsa_system_vgpr_workitem_id 0
		.amdhsa_next_free_vgpr 15
		.amdhsa_next_free_sgpr 22
		.amdhsa_accum_offset 16
		.amdhsa_reserve_vcc 1
		.amdhsa_float_round_mode_32 0
		.amdhsa_float_round_mode_16_64 0
		.amdhsa_float_denorm_mode_32 3
		.amdhsa_float_denorm_mode_16_64 3
		.amdhsa_dx10_clamp 1
		.amdhsa_ieee_mode 1
		.amdhsa_fp16_overflow 0
		.amdhsa_tg_split 0
		.amdhsa_exception_fp_ieee_invalid_op 0
		.amdhsa_exception_fp_denorm_src 0
		.amdhsa_exception_fp_ieee_div_zero 0
		.amdhsa_exception_fp_ieee_overflow 0
		.amdhsa_exception_fp_ieee_underflow 0
		.amdhsa_exception_fp_ieee_inexact 0
		.amdhsa_exception_int_div_zero 0
	.end_amdhsa_kernel
	.section	.text._ZN9rocsparseL28bsrpad_value_kernel_unsortedILi1024EdEEviiiT0_21rocsparse_index_base_PS1_PKiS5_,"axG",@progbits,_ZN9rocsparseL28bsrpad_value_kernel_unsortedILi1024EdEEviiiT0_21rocsparse_index_base_PS1_PKiS5_,comdat
.Lfunc_end3:
	.size	_ZN9rocsparseL28bsrpad_value_kernel_unsortedILi1024EdEEviiiT0_21rocsparse_index_base_PS1_PKiS5_, .Lfunc_end3-_ZN9rocsparseL28bsrpad_value_kernel_unsortedILi1024EdEEviiiT0_21rocsparse_index_base_PS1_PKiS5_
                                        ; -- End function
	.set _ZN9rocsparseL28bsrpad_value_kernel_unsortedILi1024EdEEviiiT0_21rocsparse_index_base_PS1_PKiS5_.num_vgpr, 15
	.set _ZN9rocsparseL28bsrpad_value_kernel_unsortedILi1024EdEEviiiT0_21rocsparse_index_base_PS1_PKiS5_.num_agpr, 0
	.set _ZN9rocsparseL28bsrpad_value_kernel_unsortedILi1024EdEEviiiT0_21rocsparse_index_base_PS1_PKiS5_.numbered_sgpr, 22
	.set _ZN9rocsparseL28bsrpad_value_kernel_unsortedILi1024EdEEviiiT0_21rocsparse_index_base_PS1_PKiS5_.num_named_barrier, 0
	.set _ZN9rocsparseL28bsrpad_value_kernel_unsortedILi1024EdEEviiiT0_21rocsparse_index_base_PS1_PKiS5_.private_seg_size, 0
	.set _ZN9rocsparseL28bsrpad_value_kernel_unsortedILi1024EdEEviiiT0_21rocsparse_index_base_PS1_PKiS5_.uses_vcc, 1
	.set _ZN9rocsparseL28bsrpad_value_kernel_unsortedILi1024EdEEviiiT0_21rocsparse_index_base_PS1_PKiS5_.uses_flat_scratch, 0
	.set _ZN9rocsparseL28bsrpad_value_kernel_unsortedILi1024EdEEviiiT0_21rocsparse_index_base_PS1_PKiS5_.has_dyn_sized_stack, 0
	.set _ZN9rocsparseL28bsrpad_value_kernel_unsortedILi1024EdEEviiiT0_21rocsparse_index_base_PS1_PKiS5_.has_recursion, 0
	.set _ZN9rocsparseL28bsrpad_value_kernel_unsortedILi1024EdEEviiiT0_21rocsparse_index_base_PS1_PKiS5_.has_indirect_call, 0
	.section	.AMDGPU.csdata,"",@progbits
; Kernel info:
; codeLenInByte = 816
; TotalNumSgprs: 28
; NumVgprs: 15
; NumAgprs: 0
; TotalNumVgprs: 15
; ScratchSize: 0
; MemoryBound: 0
; FloatMode: 240
; IeeeMode: 1
; LDSByteSize: 4 bytes/workgroup (compile time only)
; SGPRBlocks: 3
; VGPRBlocks: 1
; NumSGPRsForWavesPerEU: 28
; NumVGPRsForWavesPerEU: 15
; AccumOffset: 16
; Occupancy: 8
; WaveLimiterHint : 0
; COMPUTE_PGM_RSRC2:SCRATCH_EN: 0
; COMPUTE_PGM_RSRC2:USER_SGPR: 2
; COMPUTE_PGM_RSRC2:TRAP_HANDLER: 0
; COMPUTE_PGM_RSRC2:TGID_X_EN: 1
; COMPUTE_PGM_RSRC2:TGID_Y_EN: 0
; COMPUTE_PGM_RSRC2:TGID_Z_EN: 0
; COMPUTE_PGM_RSRC2:TIDIG_COMP_CNT: 0
; COMPUTE_PGM_RSRC3_GFX90A:ACCUM_OFFSET: 3
; COMPUTE_PGM_RSRC3_GFX90A:TG_SPLIT: 0
	.section	.text._ZN9rocsparseL26bsrpad_value_kernel_sortedILi1024E21rocsparse_complex_numIfEEEviiiT0_21rocsparse_index_base_PS3_PKiS7_,"axG",@progbits,_ZN9rocsparseL26bsrpad_value_kernel_sortedILi1024E21rocsparse_complex_numIfEEEviiiT0_21rocsparse_index_base_PS3_PKiS7_,comdat
	.globl	_ZN9rocsparseL26bsrpad_value_kernel_sortedILi1024E21rocsparse_complex_numIfEEEviiiT0_21rocsparse_index_base_PS3_PKiS7_ ; -- Begin function _ZN9rocsparseL26bsrpad_value_kernel_sortedILi1024E21rocsparse_complex_numIfEEEviiiT0_21rocsparse_index_base_PS3_PKiS7_
	.p2align	8
	.type	_ZN9rocsparseL26bsrpad_value_kernel_sortedILi1024E21rocsparse_complex_numIfEEEviiiT0_21rocsparse_index_base_PS3_PKiS7_,@function
_ZN9rocsparseL26bsrpad_value_kernel_sortedILi1024E21rocsparse_complex_numIfEEEviiiT0_21rocsparse_index_base_PS3_PKiS7_: ; @_ZN9rocsparseL26bsrpad_value_kernel_sortedILi1024E21rocsparse_complex_numIfEEEviiiT0_21rocsparse_index_base_PS3_PKiS7_
; %bb.0:
	s_load_dwordx4 s[4:7], s[0:1], 0x0
	s_load_dwordx2 s[8:9], s[0:1], 0x20
	s_waitcnt lgkmcnt(0)
	s_ashr_i32 s11, s5, 31
	s_mov_b32 s10, s5
	s_lshl_b64 s[10:11], s[10:11], 2
	s_add_u32 s3, s8, s10
	s_addc_u32 s7, s9, s11
	s_add_u32 s10, s3, -4
	s_addc_u32 s11, s7, -1
	s_load_dwordx2 s[8:9], s[10:11], 0x0
	s_waitcnt lgkmcnt(0)
	s_sub_i32 s3, s9, s8
	s_cmp_lt_i32 s3, 1
	s_mov_b32 s3, -1
	s_cbranch_scc1 .LBB4_2
; %bb.1:
	s_load_dword s3, s[0:1], 0x14
	s_load_dwordx2 s[10:11], s[0:1], 0x28
	s_add_i32 s5, s5, -1
	s_waitcnt lgkmcnt(0)
	s_not_b32 s7, s3
	s_add_i32 s8, s9, s7
	s_ashr_i32 s9, s8, 31
	s_lshl_b64 s[12:13], s[8:9], 2
	s_add_u32 s10, s10, s12
	s_addc_u32 s11, s11, s13
	s_load_dword s7, s[10:11], 0x0
	s_waitcnt lgkmcnt(0)
	s_sub_i32 s3, s7, s3
	s_cmp_eq_u32 s3, s5
	s_cselect_b32 s3, s8, -1
.LBB4_2:
	v_lshl_or_b32 v0, s2, 10, v0
	s_cmp_gt_i32 s3, -1
	s_cselect_b64 s[8:9], -1, 0
	v_cmp_gt_i32_e32 vcc, s6, v0
	s_and_b64 s[8:9], s[8:9], vcc
	s_and_saveexec_b64 s[10:11], s[8:9]
	s_cbranch_execz .LBB4_5
; %bb.3:
	s_abs_i32 s2, s6
	v_cvt_f32_u32_e32 v1, s2
	s_sub_i32 s7, 0, s2
	s_ashr_i32 s5, s4, 31
	s_abs_i32 s4, s4
	v_rcp_iflag_f32_e32 v1, v1
	s_nop 0
	v_mul_f32_e32 v1, 0x4f7ffffe, v1
	v_cvt_u32_f32_e32 v1, v1
	s_nop 0
	v_readfirstlane_b32 s8, v1
	s_mul_i32 s7, s7, s8
	s_mul_hi_u32 s7, s8, s7
	s_add_i32 s8, s8, s7
	s_mul_hi_u32 s7, s4, s8
	s_mul_i32 s7, s7, s2
	s_sub_i32 s4, s4, s7
	s_sub_i32 s7, s4, s2
	s_cmp_ge_u32 s4, s2
	s_cselect_b32 s4, s7, s4
	s_sub_i32 s7, s4, s2
	s_cmp_ge_u32 s4, s2
	s_cselect_b32 s2, s7, s4
	s_xor_b32 s2, s2, s5
	s_sub_i32 s2, s2, s5
	s_cmp_gt_i32 s2, 0
	s_cselect_b64 s[4:5], -1, 0
	v_cmp_le_i32_e32 vcc, s2, v0
	s_and_b64 s[4:5], s[4:5], vcc
	s_and_b64 exec, exec, s[4:5]
	s_cbranch_execz .LBB4_5
; %bb.4:
	s_mul_i32 s2, s3, s6
	v_add_u32_e32 v1, s2, v0
	s_load_dwordx2 s[2:3], s[0:1], 0x18
	s_load_dwordx2 s[4:5], s[0:1], 0xc
	v_mad_u64_u32 v[0:1], s[0:1], v1, s6, v[0:1]
	v_ashrrev_i32_e32 v1, 31, v0
	s_waitcnt lgkmcnt(0)
	v_lshl_add_u64 v[0:1], v[0:1], 3, s[2:3]
	v_mov_b64_e32 v[2:3], s[4:5]
	global_store_dwordx2 v[0:1], v[2:3], off
.LBB4_5:
	s_endpgm
	.section	.rodata,"a",@progbits
	.p2align	6, 0x0
	.amdhsa_kernel _ZN9rocsparseL26bsrpad_value_kernel_sortedILi1024E21rocsparse_complex_numIfEEEviiiT0_21rocsparse_index_base_PS3_PKiS7_
		.amdhsa_group_segment_fixed_size 0
		.amdhsa_private_segment_fixed_size 0
		.amdhsa_kernarg_size 48
		.amdhsa_user_sgpr_count 2
		.amdhsa_user_sgpr_dispatch_ptr 0
		.amdhsa_user_sgpr_queue_ptr 0
		.amdhsa_user_sgpr_kernarg_segment_ptr 1
		.amdhsa_user_sgpr_dispatch_id 0
		.amdhsa_user_sgpr_kernarg_preload_length 0
		.amdhsa_user_sgpr_kernarg_preload_offset 0
		.amdhsa_user_sgpr_private_segment_size 0
		.amdhsa_uses_dynamic_stack 0
		.amdhsa_enable_private_segment 0
		.amdhsa_system_sgpr_workgroup_id_x 1
		.amdhsa_system_sgpr_workgroup_id_y 0
		.amdhsa_system_sgpr_workgroup_id_z 0
		.amdhsa_system_sgpr_workgroup_info 0
		.amdhsa_system_vgpr_workitem_id 0
		.amdhsa_next_free_vgpr 4
		.amdhsa_next_free_sgpr 14
		.amdhsa_accum_offset 4
		.amdhsa_reserve_vcc 1
		.amdhsa_float_round_mode_32 0
		.amdhsa_float_round_mode_16_64 0
		.amdhsa_float_denorm_mode_32 3
		.amdhsa_float_denorm_mode_16_64 3
		.amdhsa_dx10_clamp 1
		.amdhsa_ieee_mode 1
		.amdhsa_fp16_overflow 0
		.amdhsa_tg_split 0
		.amdhsa_exception_fp_ieee_invalid_op 0
		.amdhsa_exception_fp_denorm_src 0
		.amdhsa_exception_fp_ieee_div_zero 0
		.amdhsa_exception_fp_ieee_overflow 0
		.amdhsa_exception_fp_ieee_underflow 0
		.amdhsa_exception_fp_ieee_inexact 0
		.amdhsa_exception_int_div_zero 0
	.end_amdhsa_kernel
	.section	.text._ZN9rocsparseL26bsrpad_value_kernel_sortedILi1024E21rocsparse_complex_numIfEEEviiiT0_21rocsparse_index_base_PS3_PKiS7_,"axG",@progbits,_ZN9rocsparseL26bsrpad_value_kernel_sortedILi1024E21rocsparse_complex_numIfEEEviiiT0_21rocsparse_index_base_PS3_PKiS7_,comdat
.Lfunc_end4:
	.size	_ZN9rocsparseL26bsrpad_value_kernel_sortedILi1024E21rocsparse_complex_numIfEEEviiiT0_21rocsparse_index_base_PS3_PKiS7_, .Lfunc_end4-_ZN9rocsparseL26bsrpad_value_kernel_sortedILi1024E21rocsparse_complex_numIfEEEviiiT0_21rocsparse_index_base_PS3_PKiS7_
                                        ; -- End function
	.set _ZN9rocsparseL26bsrpad_value_kernel_sortedILi1024E21rocsparse_complex_numIfEEEviiiT0_21rocsparse_index_base_PS3_PKiS7_.num_vgpr, 4
	.set _ZN9rocsparseL26bsrpad_value_kernel_sortedILi1024E21rocsparse_complex_numIfEEEviiiT0_21rocsparse_index_base_PS3_PKiS7_.num_agpr, 0
	.set _ZN9rocsparseL26bsrpad_value_kernel_sortedILi1024E21rocsparse_complex_numIfEEEviiiT0_21rocsparse_index_base_PS3_PKiS7_.numbered_sgpr, 14
	.set _ZN9rocsparseL26bsrpad_value_kernel_sortedILi1024E21rocsparse_complex_numIfEEEviiiT0_21rocsparse_index_base_PS3_PKiS7_.num_named_barrier, 0
	.set _ZN9rocsparseL26bsrpad_value_kernel_sortedILi1024E21rocsparse_complex_numIfEEEviiiT0_21rocsparse_index_base_PS3_PKiS7_.private_seg_size, 0
	.set _ZN9rocsparseL26bsrpad_value_kernel_sortedILi1024E21rocsparse_complex_numIfEEEviiiT0_21rocsparse_index_base_PS3_PKiS7_.uses_vcc, 1
	.set _ZN9rocsparseL26bsrpad_value_kernel_sortedILi1024E21rocsparse_complex_numIfEEEviiiT0_21rocsparse_index_base_PS3_PKiS7_.uses_flat_scratch, 0
	.set _ZN9rocsparseL26bsrpad_value_kernel_sortedILi1024E21rocsparse_complex_numIfEEEviiiT0_21rocsparse_index_base_PS3_PKiS7_.has_dyn_sized_stack, 0
	.set _ZN9rocsparseL26bsrpad_value_kernel_sortedILi1024E21rocsparse_complex_numIfEEEviiiT0_21rocsparse_index_base_PS3_PKiS7_.has_recursion, 0
	.set _ZN9rocsparseL26bsrpad_value_kernel_sortedILi1024E21rocsparse_complex_numIfEEEviiiT0_21rocsparse_index_base_PS3_PKiS7_.has_indirect_call, 0
	.section	.AMDGPU.csdata,"",@progbits
; Kernel info:
; codeLenInByte = 372
; TotalNumSgprs: 20
; NumVgprs: 4
; NumAgprs: 0
; TotalNumVgprs: 4
; ScratchSize: 0
; MemoryBound: 0
; FloatMode: 240
; IeeeMode: 1
; LDSByteSize: 0 bytes/workgroup (compile time only)
; SGPRBlocks: 2
; VGPRBlocks: 0
; NumSGPRsForWavesPerEU: 20
; NumVGPRsForWavesPerEU: 4
; AccumOffset: 4
; Occupancy: 8
; WaveLimiterHint : 1
; COMPUTE_PGM_RSRC2:SCRATCH_EN: 0
; COMPUTE_PGM_RSRC2:USER_SGPR: 2
; COMPUTE_PGM_RSRC2:TRAP_HANDLER: 0
; COMPUTE_PGM_RSRC2:TGID_X_EN: 1
; COMPUTE_PGM_RSRC2:TGID_Y_EN: 0
; COMPUTE_PGM_RSRC2:TGID_Z_EN: 0
; COMPUTE_PGM_RSRC2:TIDIG_COMP_CNT: 0
; COMPUTE_PGM_RSRC3_GFX90A:ACCUM_OFFSET: 0
; COMPUTE_PGM_RSRC3_GFX90A:TG_SPLIT: 0
	.section	.text._ZN9rocsparseL28bsrpad_value_kernel_unsortedILi1024E21rocsparse_complex_numIfEEEviiiT0_21rocsparse_index_base_PS3_PKiS7_,"axG",@progbits,_ZN9rocsparseL28bsrpad_value_kernel_unsortedILi1024E21rocsparse_complex_numIfEEEviiiT0_21rocsparse_index_base_PS3_PKiS7_,comdat
	.globl	_ZN9rocsparseL28bsrpad_value_kernel_unsortedILi1024E21rocsparse_complex_numIfEEEviiiT0_21rocsparse_index_base_PS3_PKiS7_ ; -- Begin function _ZN9rocsparseL28bsrpad_value_kernel_unsortedILi1024E21rocsparse_complex_numIfEEEviiiT0_21rocsparse_index_base_PS3_PKiS7_
	.p2align	8
	.type	_ZN9rocsparseL28bsrpad_value_kernel_unsortedILi1024E21rocsparse_complex_numIfEEEviiiT0_21rocsparse_index_base_PS3_PKiS7_,@function
_ZN9rocsparseL28bsrpad_value_kernel_unsortedILi1024E21rocsparse_complex_numIfEEEviiiT0_21rocsparse_index_base_PS3_PKiS7_: ; @_ZN9rocsparseL28bsrpad_value_kernel_unsortedILi1024E21rocsparse_complex_numIfEEEviiiT0_21rocsparse_index_base_PS3_PKiS7_
; %bb.0:
	s_load_dwordx2 s[4:5], s[0:1], 0x20
	v_cmp_eq_u32_e32 vcc, 0, v0
	s_and_saveexec_b64 s[6:7], vcc
; %bb.1:
	v_mov_b32_e32 v1, -1
	v_mov_b32_e32 v2, 0
	ds_write_b32 v2, v1
; %bb.2:
	s_or_b64 exec, exec, s[6:7]
	s_load_dwordx4 s[8:11], s[0:1], 0x0
	s_load_dword s3, s[0:1], 0x14
	s_waitcnt lgkmcnt(0)
	s_ashr_i32 s7, s9, 31
	s_mov_b32 s6, s9
	s_lshl_b64 s[6:7], s[6:7], 2
	s_add_u32 s4, s4, s6
	s_addc_u32 s5, s5, s7
	s_add_u32 s6, s4, -4
	s_addc_u32 s7, s5, -1
	s_load_dwordx2 s[4:5], s[6:7], 0x0
	v_subrev_u32_e32 v1, s3, v0
	s_waitcnt lgkmcnt(0)
	s_barrier
	s_sub_i32 s11, s5, s3
	v_add_u32_e32 v2, s4, v1
	v_cmp_gt_i32_e32 vcc, s11, v2
	s_and_saveexec_b64 s[6:7], vcc
	s_cbranch_execz .LBB5_14
; %bb.3:
	v_add_u32_e32 v1, s4, v0
	v_subrev_u32_e32 v1, s3, v1
	s_load_dwordx2 s[12:13], s[0:1], 0x28
	v_add_u32_e32 v1, 0x400, v1
	v_max_i32_e32 v1, s11, v1
	v_not_b32_e32 v3, v0
	v_add3_u32 v1, s3, v1, v3
	v_subrev_u32_e32 v1, s4, v1
	s_movk_i32 s4, 0x3ff
	s_add_i32 s9, s9, -1
	v_cmp_lt_u32_e32 vcc, s4, v1
	s_mov_b64 s[4:5], -1
	s_and_saveexec_b64 s[14:15], vcc
	s_cbranch_execz .LBB5_9
; %bb.4:
	v_lshrrev_b32_e32 v1, 10, v1
	v_add_u32_e32 v1, 1, v1
	v_and_b32_e32 v6, 0x7ffffe, v1
	v_add_u32_e32 v3, 0x400, v2
	s_mov_b32 s18, s3
	s_mov_b32 s19, s9
	s_mov_b64 s[16:17], 0
	v_mov_b32_e32 v7, 0
	v_mov_b32_e32 v8, v6
	;; [unrolled: 1-line block ×3, first 2 shown]
	v_mov_b64_e32 v[4:5], v[2:3]
	s_branch .LBB5_6
.LBB5_5:                                ;   in Loop: Header=BB5_6 Depth=1
	s_or_b64 exec, exec, s[4:5]
	v_add_u32_e32 v8, -2, v8
	v_cmp_eq_u32_e32 vcc, 0, v8
	v_add_u32_e32 v5, 0x800, v5
	v_add_u32_e32 v4, 0x800, v4
	s_or_b64 s[16:17], vcc, s[16:17]
	v_add_u32_e32 v9, 0x800, v9
	s_andn2_b64 exec, exec, s[16:17]
	s_cbranch_execz .LBB5_8
.LBB5_6:                                ; =>This Inner Loop Header: Depth=1
	v_ashrrev_i32_e32 v13, 31, v4
	v_mov_b32_e32 v12, v4
	v_ashrrev_i32_e32 v11, 31, v5
	v_mov_b32_e32 v10, v5
	s_waitcnt lgkmcnt(0)
	v_lshl_add_u64 v[12:13], v[12:13], 2, s[12:13]
	v_lshl_add_u64 v[10:11], v[10:11], 2, s[12:13]
	global_load_dword v3, v[12:13], off
	global_load_dword v14, v[10:11], off
	s_waitcnt vmcnt(1)
	v_subrev_u32_e32 v3, s3, v3
	s_waitcnt vmcnt(0)
	v_subrev_u32_e32 v10, s18, v14
	v_cmp_eq_u32_e32 vcc, s19, v10
	v_cmp_eq_u32_e64 s[4:5], s9, v3
	s_or_b64 s[20:21], s[4:5], vcc
	s_and_saveexec_b64 s[4:5], s[20:21]
	s_cbranch_execz .LBB5_5
; %bb.7:                                ;   in Loop: Header=BB5_6 Depth=1
	v_add_u32_e32 v3, 0x400, v9
	v_cndmask_b32_e32 v3, v9, v3, vcc
	ds_write_b32 v7, v3
	s_branch .LBB5_5
.LBB5_8:
	s_or_b64 exec, exec, s[16:17]
	v_cmp_ne_u32_e32 vcc, v1, v6
	v_lshl_add_u32 v2, v6, 10, v2
	s_orn2_b64 s[4:5], vcc, exec
.LBB5_9:
	s_or_b64 exec, exec, s[14:15]
	s_and_b64 exec, exec, s[4:5]
	s_cbranch_execz .LBB5_14
; %bb.10:
	v_ashrrev_i32_e32 v3, 31, v2
	s_waitcnt lgkmcnt(0)
	v_lshl_add_u64 v[4:5], v[2:3], 2, s[12:13]
	s_mov_b64 s[4:5], 0
	v_mov_b32_e32 v1, 0
	s_mov_b64 s[12:13], 0x1000
	s_branch .LBB5_12
.LBB5_11:                               ;   in Loop: Header=BB5_12 Depth=1
	s_or_b64 exec, exec, s[14:15]
	v_add_u32_e32 v2, 0x400, v2
	v_cmp_le_i32_e32 vcc, s11, v2
	s_or_b64 s[4:5], vcc, s[4:5]
	v_lshl_add_u64 v[4:5], v[4:5], 0, s[12:13]
	s_andn2_b64 exec, exec, s[4:5]
	s_cbranch_execz .LBB5_14
.LBB5_12:                               ; =>This Inner Loop Header: Depth=1
	global_load_dword v3, v[4:5], off
	s_waitcnt vmcnt(0)
	v_subrev_u32_e32 v3, s3, v3
	v_cmp_eq_u32_e32 vcc, s9, v3
	s_and_saveexec_b64 s[14:15], vcc
	s_cbranch_execz .LBB5_11
; %bb.13:                               ;   in Loop: Header=BB5_12 Depth=1
	ds_write_b32 v1, v2
	s_branch .LBB5_11
.LBB5_14:
	s_or_b64 exec, exec, s[6:7]
	v_mov_b32_e32 v1, 0
	s_waitcnt lgkmcnt(0)
	s_barrier
	ds_read_b32 v1, v1
	v_lshl_or_b32 v0, s2, 10, v0
	v_cmp_gt_i32_e32 vcc, s10, v0
	s_waitcnt lgkmcnt(0)
	v_readfirstlane_b32 s2, v1
	s_cmp_gt_i32 s2, -1
	s_cselect_b64 s[2:3], -1, 0
	s_and_b64 s[2:3], s[2:3], vcc
	s_and_saveexec_b64 s[4:5], s[2:3]
	s_cbranch_execz .LBB5_17
; %bb.15:
	s_abs_i32 s2, s10
	v_cvt_f32_u32_e32 v2, s2
	s_sub_i32 s5, 0, s2
	s_abs_i32 s4, s8
	s_ashr_i32 s3, s8, 31
	v_rcp_iflag_f32_e32 v2, v2
	s_nop 0
	v_mul_f32_e32 v2, 0x4f7ffffe, v2
	v_cvt_u32_f32_e32 v2, v2
	s_nop 0
	v_readfirstlane_b32 s6, v2
	s_mul_i32 s5, s5, s6
	s_mul_hi_u32 s5, s6, s5
	s_add_i32 s6, s6, s5
	s_mul_hi_u32 s5, s4, s6
	s_mul_i32 s5, s5, s2
	s_sub_i32 s4, s4, s5
	s_sub_i32 s5, s4, s2
	s_cmp_ge_u32 s4, s2
	s_cselect_b32 s4, s5, s4
	s_sub_i32 s5, s4, s2
	s_cmp_ge_u32 s4, s2
	s_cselect_b32 s2, s5, s4
	s_xor_b32 s2, s2, s3
	s_sub_i32 s4, s2, s3
	s_cmp_gt_i32 s4, 0
	s_cselect_b64 s[2:3], -1, 0
	v_cmp_le_i32_e32 vcc, s4, v0
	s_and_b64 s[2:3], s[2:3], vcc
	s_and_b64 exec, exec, s[2:3]
	s_cbranch_execz .LBB5_17
; %bb.16:
	s_load_dwordx2 s[2:3], s[0:1], 0x18
	s_load_dwordx2 s[4:5], s[0:1], 0xc
	v_mul_lo_u32 v1, v1, s10
	v_add_u32_e32 v1, v1, v0
	v_mad_u64_u32 v[0:1], s[0:1], v1, s10, v[0:1]
	v_ashrrev_i32_e32 v1, 31, v0
	s_waitcnt lgkmcnt(0)
	v_lshl_add_u64 v[0:1], v[0:1], 3, s[2:3]
	v_mov_b64_e32 v[2:3], s[4:5]
	global_store_dwordx2 v[0:1], v[2:3], off
.LBB5_17:
	s_endpgm
	.section	.rodata,"a",@progbits
	.p2align	6, 0x0
	.amdhsa_kernel _ZN9rocsparseL28bsrpad_value_kernel_unsortedILi1024E21rocsparse_complex_numIfEEEviiiT0_21rocsparse_index_base_PS3_PKiS7_
		.amdhsa_group_segment_fixed_size 4
		.amdhsa_private_segment_fixed_size 0
		.amdhsa_kernarg_size 48
		.amdhsa_user_sgpr_count 2
		.amdhsa_user_sgpr_dispatch_ptr 0
		.amdhsa_user_sgpr_queue_ptr 0
		.amdhsa_user_sgpr_kernarg_segment_ptr 1
		.amdhsa_user_sgpr_dispatch_id 0
		.amdhsa_user_sgpr_kernarg_preload_length 0
		.amdhsa_user_sgpr_kernarg_preload_offset 0
		.amdhsa_user_sgpr_private_segment_size 0
		.amdhsa_uses_dynamic_stack 0
		.amdhsa_enable_private_segment 0
		.amdhsa_system_sgpr_workgroup_id_x 1
		.amdhsa_system_sgpr_workgroup_id_y 0
		.amdhsa_system_sgpr_workgroup_id_z 0
		.amdhsa_system_sgpr_workgroup_info 0
		.amdhsa_system_vgpr_workitem_id 0
		.amdhsa_next_free_vgpr 15
		.amdhsa_next_free_sgpr 22
		.amdhsa_accum_offset 16
		.amdhsa_reserve_vcc 1
		.amdhsa_float_round_mode_32 0
		.amdhsa_float_round_mode_16_64 0
		.amdhsa_float_denorm_mode_32 3
		.amdhsa_float_denorm_mode_16_64 3
		.amdhsa_dx10_clamp 1
		.amdhsa_ieee_mode 1
		.amdhsa_fp16_overflow 0
		.amdhsa_tg_split 0
		.amdhsa_exception_fp_ieee_invalid_op 0
		.amdhsa_exception_fp_denorm_src 0
		.amdhsa_exception_fp_ieee_div_zero 0
		.amdhsa_exception_fp_ieee_overflow 0
		.amdhsa_exception_fp_ieee_underflow 0
		.amdhsa_exception_fp_ieee_inexact 0
		.amdhsa_exception_int_div_zero 0
	.end_amdhsa_kernel
	.section	.text._ZN9rocsparseL28bsrpad_value_kernel_unsortedILi1024E21rocsparse_complex_numIfEEEviiiT0_21rocsparse_index_base_PS3_PKiS7_,"axG",@progbits,_ZN9rocsparseL28bsrpad_value_kernel_unsortedILi1024E21rocsparse_complex_numIfEEEviiiT0_21rocsparse_index_base_PS3_PKiS7_,comdat
.Lfunc_end5:
	.size	_ZN9rocsparseL28bsrpad_value_kernel_unsortedILi1024E21rocsparse_complex_numIfEEEviiiT0_21rocsparse_index_base_PS3_PKiS7_, .Lfunc_end5-_ZN9rocsparseL28bsrpad_value_kernel_unsortedILi1024E21rocsparse_complex_numIfEEEviiiT0_21rocsparse_index_base_PS3_PKiS7_
                                        ; -- End function
	.set _ZN9rocsparseL28bsrpad_value_kernel_unsortedILi1024E21rocsparse_complex_numIfEEEviiiT0_21rocsparse_index_base_PS3_PKiS7_.num_vgpr, 15
	.set _ZN9rocsparseL28bsrpad_value_kernel_unsortedILi1024E21rocsparse_complex_numIfEEEviiiT0_21rocsparse_index_base_PS3_PKiS7_.num_agpr, 0
	.set _ZN9rocsparseL28bsrpad_value_kernel_unsortedILi1024E21rocsparse_complex_numIfEEEviiiT0_21rocsparse_index_base_PS3_PKiS7_.numbered_sgpr, 22
	.set _ZN9rocsparseL28bsrpad_value_kernel_unsortedILi1024E21rocsparse_complex_numIfEEEviiiT0_21rocsparse_index_base_PS3_PKiS7_.num_named_barrier, 0
	.set _ZN9rocsparseL28bsrpad_value_kernel_unsortedILi1024E21rocsparse_complex_numIfEEEviiiT0_21rocsparse_index_base_PS3_PKiS7_.private_seg_size, 0
	.set _ZN9rocsparseL28bsrpad_value_kernel_unsortedILi1024E21rocsparse_complex_numIfEEEviiiT0_21rocsparse_index_base_PS3_PKiS7_.uses_vcc, 1
	.set _ZN9rocsparseL28bsrpad_value_kernel_unsortedILi1024E21rocsparse_complex_numIfEEEviiiT0_21rocsparse_index_base_PS3_PKiS7_.uses_flat_scratch, 0
	.set _ZN9rocsparseL28bsrpad_value_kernel_unsortedILi1024E21rocsparse_complex_numIfEEEviiiT0_21rocsparse_index_base_PS3_PKiS7_.has_dyn_sized_stack, 0
	.set _ZN9rocsparseL28bsrpad_value_kernel_unsortedILi1024E21rocsparse_complex_numIfEEEviiiT0_21rocsparse_index_base_PS3_PKiS7_.has_recursion, 0
	.set _ZN9rocsparseL28bsrpad_value_kernel_unsortedILi1024E21rocsparse_complex_numIfEEEviiiT0_21rocsparse_index_base_PS3_PKiS7_.has_indirect_call, 0
	.section	.AMDGPU.csdata,"",@progbits
; Kernel info:
; codeLenInByte = 816
; TotalNumSgprs: 28
; NumVgprs: 15
; NumAgprs: 0
; TotalNumVgprs: 15
; ScratchSize: 0
; MemoryBound: 0
; FloatMode: 240
; IeeeMode: 1
; LDSByteSize: 4 bytes/workgroup (compile time only)
; SGPRBlocks: 3
; VGPRBlocks: 1
; NumSGPRsForWavesPerEU: 28
; NumVGPRsForWavesPerEU: 15
; AccumOffset: 16
; Occupancy: 8
; WaveLimiterHint : 0
; COMPUTE_PGM_RSRC2:SCRATCH_EN: 0
; COMPUTE_PGM_RSRC2:USER_SGPR: 2
; COMPUTE_PGM_RSRC2:TRAP_HANDLER: 0
; COMPUTE_PGM_RSRC2:TGID_X_EN: 1
; COMPUTE_PGM_RSRC2:TGID_Y_EN: 0
; COMPUTE_PGM_RSRC2:TGID_Z_EN: 0
; COMPUTE_PGM_RSRC2:TIDIG_COMP_CNT: 0
; COMPUTE_PGM_RSRC3_GFX90A:ACCUM_OFFSET: 3
; COMPUTE_PGM_RSRC3_GFX90A:TG_SPLIT: 0
	.section	.text._ZN9rocsparseL26bsrpad_value_kernel_sortedILi1024E21rocsparse_complex_numIdEEEviiiT0_21rocsparse_index_base_PS3_PKiS7_,"axG",@progbits,_ZN9rocsparseL26bsrpad_value_kernel_sortedILi1024E21rocsparse_complex_numIdEEEviiiT0_21rocsparse_index_base_PS3_PKiS7_,comdat
	.globl	_ZN9rocsparseL26bsrpad_value_kernel_sortedILi1024E21rocsparse_complex_numIdEEEviiiT0_21rocsparse_index_base_PS3_PKiS7_ ; -- Begin function _ZN9rocsparseL26bsrpad_value_kernel_sortedILi1024E21rocsparse_complex_numIdEEEviiiT0_21rocsparse_index_base_PS3_PKiS7_
	.p2align	8
	.type	_ZN9rocsparseL26bsrpad_value_kernel_sortedILi1024E21rocsparse_complex_numIdEEEviiiT0_21rocsparse_index_base_PS3_PKiS7_,@function
_ZN9rocsparseL26bsrpad_value_kernel_sortedILi1024E21rocsparse_complex_numIdEEEviiiT0_21rocsparse_index_base_PS3_PKiS7_: ; @_ZN9rocsparseL26bsrpad_value_kernel_sortedILi1024E21rocsparse_complex_numIdEEEviiiT0_21rocsparse_index_base_PS3_PKiS7_
; %bb.0:
	s_load_dwordx4 s[4:7], s[0:1], 0x0
	s_load_dwordx2 s[8:9], s[0:1], 0x30
	s_waitcnt lgkmcnt(0)
	s_ashr_i32 s11, s5, 31
	s_mov_b32 s10, s5
	s_lshl_b64 s[10:11], s[10:11], 2
	s_add_u32 s3, s8, s10
	s_addc_u32 s7, s9, s11
	s_add_u32 s10, s3, -4
	s_addc_u32 s11, s7, -1
	s_load_dwordx2 s[8:9], s[10:11], 0x0
	s_waitcnt lgkmcnt(0)
	s_sub_i32 s3, s9, s8
	s_cmp_lt_i32 s3, 1
	s_mov_b32 s3, -1
	s_cbranch_scc1 .LBB6_2
; %bb.1:
	s_load_dword s3, s[0:1], 0x20
	s_load_dwordx2 s[10:11], s[0:1], 0x38
	s_add_i32 s5, s5, -1
	s_waitcnt lgkmcnt(0)
	s_not_b32 s7, s3
	s_add_i32 s8, s9, s7
	s_ashr_i32 s9, s8, 31
	s_lshl_b64 s[12:13], s[8:9], 2
	s_add_u32 s10, s10, s12
	s_addc_u32 s11, s11, s13
	s_load_dword s7, s[10:11], 0x0
	s_waitcnt lgkmcnt(0)
	s_sub_i32 s3, s7, s3
	s_cmp_eq_u32 s3, s5
	s_cselect_b32 s3, s8, -1
.LBB6_2:
	v_lshl_or_b32 v0, s2, 10, v0
	s_cmp_gt_i32 s3, -1
	s_cselect_b64 s[8:9], -1, 0
	v_cmp_gt_i32_e32 vcc, s6, v0
	s_and_b64 s[8:9], s[8:9], vcc
	s_and_saveexec_b64 s[10:11], s[8:9]
	s_cbranch_execz .LBB6_5
; %bb.3:
	s_abs_i32 s2, s6
	v_cvt_f32_u32_e32 v1, s2
	s_sub_i32 s7, 0, s2
	s_ashr_i32 s5, s4, 31
	s_abs_i32 s4, s4
	v_rcp_iflag_f32_e32 v1, v1
	s_nop 0
	v_mul_f32_e32 v1, 0x4f7ffffe, v1
	v_cvt_u32_f32_e32 v1, v1
	s_nop 0
	v_readfirstlane_b32 s8, v1
	s_mul_i32 s7, s7, s8
	s_mul_hi_u32 s7, s8, s7
	s_add_i32 s8, s8, s7
	s_mul_hi_u32 s7, s4, s8
	s_mul_i32 s7, s7, s2
	s_sub_i32 s4, s4, s7
	s_sub_i32 s7, s4, s2
	s_cmp_ge_u32 s4, s2
	s_cselect_b32 s4, s7, s4
	s_sub_i32 s7, s4, s2
	s_cmp_ge_u32 s4, s2
	s_cselect_b32 s2, s7, s4
	s_xor_b32 s2, s2, s5
	s_sub_i32 s2, s2, s5
	s_cmp_gt_i32 s2, 0
	s_cselect_b64 s[4:5], -1, 0
	v_cmp_le_i32_e32 vcc, s2, v0
	s_and_b64 s[4:5], s[4:5], vcc
	s_and_b64 exec, exec, s[4:5]
	s_cbranch_execz .LBB6_5
; %bb.4:
	s_mul_i32 s2, s3, s6
	v_add_u32_e32 v1, s2, v0
	s_load_dwordx2 s[2:3], s[0:1], 0x28
	s_load_dwordx4 s[8:11], s[0:1], 0x10
	v_mad_u64_u32 v[0:1], s[0:1], v1, s6, v[0:1]
	v_ashrrev_i32_e32 v1, 31, v0
	s_waitcnt lgkmcnt(0)
	v_lshl_add_u64 v[0:1], v[0:1], 4, s[2:3]
	v_mov_b64_e32 v[2:3], s[8:9]
	v_mov_b64_e32 v[4:5], s[10:11]
	global_store_dwordx4 v[0:1], v[2:5], off
.LBB6_5:
	s_endpgm
	.section	.rodata,"a",@progbits
	.p2align	6, 0x0
	.amdhsa_kernel _ZN9rocsparseL26bsrpad_value_kernel_sortedILi1024E21rocsparse_complex_numIdEEEviiiT0_21rocsparse_index_base_PS3_PKiS7_
		.amdhsa_group_segment_fixed_size 0
		.amdhsa_private_segment_fixed_size 0
		.amdhsa_kernarg_size 64
		.amdhsa_user_sgpr_count 2
		.amdhsa_user_sgpr_dispatch_ptr 0
		.amdhsa_user_sgpr_queue_ptr 0
		.amdhsa_user_sgpr_kernarg_segment_ptr 1
		.amdhsa_user_sgpr_dispatch_id 0
		.amdhsa_user_sgpr_kernarg_preload_length 0
		.amdhsa_user_sgpr_kernarg_preload_offset 0
		.amdhsa_user_sgpr_private_segment_size 0
		.amdhsa_uses_dynamic_stack 0
		.amdhsa_enable_private_segment 0
		.amdhsa_system_sgpr_workgroup_id_x 1
		.amdhsa_system_sgpr_workgroup_id_y 0
		.amdhsa_system_sgpr_workgroup_id_z 0
		.amdhsa_system_sgpr_workgroup_info 0
		.amdhsa_system_vgpr_workitem_id 0
		.amdhsa_next_free_vgpr 6
		.amdhsa_next_free_sgpr 14
		.amdhsa_accum_offset 8
		.amdhsa_reserve_vcc 1
		.amdhsa_float_round_mode_32 0
		.amdhsa_float_round_mode_16_64 0
		.amdhsa_float_denorm_mode_32 3
		.amdhsa_float_denorm_mode_16_64 3
		.amdhsa_dx10_clamp 1
		.amdhsa_ieee_mode 1
		.amdhsa_fp16_overflow 0
		.amdhsa_tg_split 0
		.amdhsa_exception_fp_ieee_invalid_op 0
		.amdhsa_exception_fp_denorm_src 0
		.amdhsa_exception_fp_ieee_div_zero 0
		.amdhsa_exception_fp_ieee_overflow 0
		.amdhsa_exception_fp_ieee_underflow 0
		.amdhsa_exception_fp_ieee_inexact 0
		.amdhsa_exception_int_div_zero 0
	.end_amdhsa_kernel
	.section	.text._ZN9rocsparseL26bsrpad_value_kernel_sortedILi1024E21rocsparse_complex_numIdEEEviiiT0_21rocsparse_index_base_PS3_PKiS7_,"axG",@progbits,_ZN9rocsparseL26bsrpad_value_kernel_sortedILi1024E21rocsparse_complex_numIdEEEviiiT0_21rocsparse_index_base_PS3_PKiS7_,comdat
.Lfunc_end6:
	.size	_ZN9rocsparseL26bsrpad_value_kernel_sortedILi1024E21rocsparse_complex_numIdEEEviiiT0_21rocsparse_index_base_PS3_PKiS7_, .Lfunc_end6-_ZN9rocsparseL26bsrpad_value_kernel_sortedILi1024E21rocsparse_complex_numIdEEEviiiT0_21rocsparse_index_base_PS3_PKiS7_
                                        ; -- End function
	.set _ZN9rocsparseL26bsrpad_value_kernel_sortedILi1024E21rocsparse_complex_numIdEEEviiiT0_21rocsparse_index_base_PS3_PKiS7_.num_vgpr, 6
	.set _ZN9rocsparseL26bsrpad_value_kernel_sortedILi1024E21rocsparse_complex_numIdEEEviiiT0_21rocsparse_index_base_PS3_PKiS7_.num_agpr, 0
	.set _ZN9rocsparseL26bsrpad_value_kernel_sortedILi1024E21rocsparse_complex_numIdEEEviiiT0_21rocsparse_index_base_PS3_PKiS7_.numbered_sgpr, 14
	.set _ZN9rocsparseL26bsrpad_value_kernel_sortedILi1024E21rocsparse_complex_numIdEEEviiiT0_21rocsparse_index_base_PS3_PKiS7_.num_named_barrier, 0
	.set _ZN9rocsparseL26bsrpad_value_kernel_sortedILi1024E21rocsparse_complex_numIdEEEviiiT0_21rocsparse_index_base_PS3_PKiS7_.private_seg_size, 0
	.set _ZN9rocsparseL26bsrpad_value_kernel_sortedILi1024E21rocsparse_complex_numIdEEEviiiT0_21rocsparse_index_base_PS3_PKiS7_.uses_vcc, 1
	.set _ZN9rocsparseL26bsrpad_value_kernel_sortedILi1024E21rocsparse_complex_numIdEEEviiiT0_21rocsparse_index_base_PS3_PKiS7_.uses_flat_scratch, 0
	.set _ZN9rocsparseL26bsrpad_value_kernel_sortedILi1024E21rocsparse_complex_numIdEEEviiiT0_21rocsparse_index_base_PS3_PKiS7_.has_dyn_sized_stack, 0
	.set _ZN9rocsparseL26bsrpad_value_kernel_sortedILi1024E21rocsparse_complex_numIdEEEviiiT0_21rocsparse_index_base_PS3_PKiS7_.has_recursion, 0
	.set _ZN9rocsparseL26bsrpad_value_kernel_sortedILi1024E21rocsparse_complex_numIdEEEviiiT0_21rocsparse_index_base_PS3_PKiS7_.has_indirect_call, 0
	.section	.AMDGPU.csdata,"",@progbits
; Kernel info:
; codeLenInByte = 376
; TotalNumSgprs: 20
; NumVgprs: 6
; NumAgprs: 0
; TotalNumVgprs: 6
; ScratchSize: 0
; MemoryBound: 0
; FloatMode: 240
; IeeeMode: 1
; LDSByteSize: 0 bytes/workgroup (compile time only)
; SGPRBlocks: 2
; VGPRBlocks: 0
; NumSGPRsForWavesPerEU: 20
; NumVGPRsForWavesPerEU: 6
; AccumOffset: 8
; Occupancy: 8
; WaveLimiterHint : 1
; COMPUTE_PGM_RSRC2:SCRATCH_EN: 0
; COMPUTE_PGM_RSRC2:USER_SGPR: 2
; COMPUTE_PGM_RSRC2:TRAP_HANDLER: 0
; COMPUTE_PGM_RSRC2:TGID_X_EN: 1
; COMPUTE_PGM_RSRC2:TGID_Y_EN: 0
; COMPUTE_PGM_RSRC2:TGID_Z_EN: 0
; COMPUTE_PGM_RSRC2:TIDIG_COMP_CNT: 0
; COMPUTE_PGM_RSRC3_GFX90A:ACCUM_OFFSET: 1
; COMPUTE_PGM_RSRC3_GFX90A:TG_SPLIT: 0
	.section	.text._ZN9rocsparseL28bsrpad_value_kernel_unsortedILi1024E21rocsparse_complex_numIdEEEviiiT0_21rocsparse_index_base_PS3_PKiS7_,"axG",@progbits,_ZN9rocsparseL28bsrpad_value_kernel_unsortedILi1024E21rocsparse_complex_numIdEEEviiiT0_21rocsparse_index_base_PS3_PKiS7_,comdat
	.globl	_ZN9rocsparseL28bsrpad_value_kernel_unsortedILi1024E21rocsparse_complex_numIdEEEviiiT0_21rocsparse_index_base_PS3_PKiS7_ ; -- Begin function _ZN9rocsparseL28bsrpad_value_kernel_unsortedILi1024E21rocsparse_complex_numIdEEEviiiT0_21rocsparse_index_base_PS3_PKiS7_
	.p2align	8
	.type	_ZN9rocsparseL28bsrpad_value_kernel_unsortedILi1024E21rocsparse_complex_numIdEEEviiiT0_21rocsparse_index_base_PS3_PKiS7_,@function
_ZN9rocsparseL28bsrpad_value_kernel_unsortedILi1024E21rocsparse_complex_numIdEEEviiiT0_21rocsparse_index_base_PS3_PKiS7_: ; @_ZN9rocsparseL28bsrpad_value_kernel_unsortedILi1024E21rocsparse_complex_numIdEEEviiiT0_21rocsparse_index_base_PS3_PKiS7_
; %bb.0:
	s_load_dwordx2 s[4:5], s[0:1], 0x30
	v_cmp_eq_u32_e32 vcc, 0, v0
	s_and_saveexec_b64 s[6:7], vcc
; %bb.1:
	v_mov_b32_e32 v1, -1
	v_mov_b32_e32 v2, 0
	ds_write_b32 v2, v1
; %bb.2:
	s_or_b64 exec, exec, s[6:7]
	s_load_dwordx4 s[8:11], s[0:1], 0x0
	s_load_dword s3, s[0:1], 0x20
	s_waitcnt lgkmcnt(0)
	s_ashr_i32 s7, s9, 31
	s_mov_b32 s6, s9
	s_lshl_b64 s[6:7], s[6:7], 2
	s_add_u32 s4, s4, s6
	s_addc_u32 s5, s5, s7
	s_add_u32 s6, s4, -4
	s_addc_u32 s7, s5, -1
	s_load_dwordx2 s[4:5], s[6:7], 0x0
	v_subrev_u32_e32 v1, s3, v0
	s_waitcnt lgkmcnt(0)
	s_barrier
	s_sub_i32 s11, s5, s3
	v_add_u32_e32 v2, s4, v1
	v_cmp_gt_i32_e32 vcc, s11, v2
	s_and_saveexec_b64 s[6:7], vcc
	s_cbranch_execz .LBB7_14
; %bb.3:
	v_add_u32_e32 v1, s4, v0
	v_subrev_u32_e32 v1, s3, v1
	s_load_dwordx2 s[12:13], s[0:1], 0x38
	v_add_u32_e32 v1, 0x400, v1
	v_max_i32_e32 v1, s11, v1
	v_not_b32_e32 v3, v0
	v_add3_u32 v1, s3, v1, v3
	v_subrev_u32_e32 v1, s4, v1
	s_movk_i32 s4, 0x3ff
	s_add_i32 s9, s9, -1
	v_cmp_lt_u32_e32 vcc, s4, v1
	s_mov_b64 s[4:5], -1
	s_and_saveexec_b64 s[14:15], vcc
	s_cbranch_execz .LBB7_9
; %bb.4:
	v_lshrrev_b32_e32 v1, 10, v1
	v_add_u32_e32 v1, 1, v1
	v_and_b32_e32 v6, 0x7ffffe, v1
	v_add_u32_e32 v3, 0x400, v2
	s_mov_b32 s18, s3
	s_mov_b32 s19, s9
	s_mov_b64 s[16:17], 0
	v_mov_b32_e32 v7, 0
	v_mov_b32_e32 v8, v6
	;; [unrolled: 1-line block ×3, first 2 shown]
	v_mov_b64_e32 v[4:5], v[2:3]
	s_branch .LBB7_6
.LBB7_5:                                ;   in Loop: Header=BB7_6 Depth=1
	s_or_b64 exec, exec, s[4:5]
	v_add_u32_e32 v8, -2, v8
	v_cmp_eq_u32_e32 vcc, 0, v8
	v_add_u32_e32 v5, 0x800, v5
	v_add_u32_e32 v4, 0x800, v4
	s_or_b64 s[16:17], vcc, s[16:17]
	v_add_u32_e32 v9, 0x800, v9
	s_andn2_b64 exec, exec, s[16:17]
	s_cbranch_execz .LBB7_8
.LBB7_6:                                ; =>This Inner Loop Header: Depth=1
	v_ashrrev_i32_e32 v13, 31, v4
	v_mov_b32_e32 v12, v4
	v_ashrrev_i32_e32 v11, 31, v5
	v_mov_b32_e32 v10, v5
	s_waitcnt lgkmcnt(0)
	v_lshl_add_u64 v[12:13], v[12:13], 2, s[12:13]
	v_lshl_add_u64 v[10:11], v[10:11], 2, s[12:13]
	global_load_dword v3, v[12:13], off
	global_load_dword v14, v[10:11], off
	s_waitcnt vmcnt(1)
	v_subrev_u32_e32 v3, s3, v3
	s_waitcnt vmcnt(0)
	v_subrev_u32_e32 v10, s18, v14
	v_cmp_eq_u32_e32 vcc, s19, v10
	v_cmp_eq_u32_e64 s[4:5], s9, v3
	s_or_b64 s[20:21], s[4:5], vcc
	s_and_saveexec_b64 s[4:5], s[20:21]
	s_cbranch_execz .LBB7_5
; %bb.7:                                ;   in Loop: Header=BB7_6 Depth=1
	v_add_u32_e32 v3, 0x400, v9
	v_cndmask_b32_e32 v3, v9, v3, vcc
	ds_write_b32 v7, v3
	s_branch .LBB7_5
.LBB7_8:
	s_or_b64 exec, exec, s[16:17]
	v_cmp_ne_u32_e32 vcc, v1, v6
	v_lshl_add_u32 v2, v6, 10, v2
	s_orn2_b64 s[4:5], vcc, exec
.LBB7_9:
	s_or_b64 exec, exec, s[14:15]
	s_and_b64 exec, exec, s[4:5]
	s_cbranch_execz .LBB7_14
; %bb.10:
	v_ashrrev_i32_e32 v3, 31, v2
	s_waitcnt lgkmcnt(0)
	v_lshl_add_u64 v[4:5], v[2:3], 2, s[12:13]
	s_mov_b64 s[4:5], 0
	v_mov_b32_e32 v1, 0
	s_mov_b64 s[12:13], 0x1000
	s_branch .LBB7_12
.LBB7_11:                               ;   in Loop: Header=BB7_12 Depth=1
	s_or_b64 exec, exec, s[14:15]
	v_add_u32_e32 v2, 0x400, v2
	v_cmp_le_i32_e32 vcc, s11, v2
	s_or_b64 s[4:5], vcc, s[4:5]
	v_lshl_add_u64 v[4:5], v[4:5], 0, s[12:13]
	s_andn2_b64 exec, exec, s[4:5]
	s_cbranch_execz .LBB7_14
.LBB7_12:                               ; =>This Inner Loop Header: Depth=1
	global_load_dword v3, v[4:5], off
	s_waitcnt vmcnt(0)
	v_subrev_u32_e32 v3, s3, v3
	v_cmp_eq_u32_e32 vcc, s9, v3
	s_and_saveexec_b64 s[14:15], vcc
	s_cbranch_execz .LBB7_11
; %bb.13:                               ;   in Loop: Header=BB7_12 Depth=1
	ds_write_b32 v1, v2
	s_branch .LBB7_11
.LBB7_14:
	s_or_b64 exec, exec, s[6:7]
	v_mov_b32_e32 v1, 0
	s_waitcnt lgkmcnt(0)
	s_barrier
	ds_read_b32 v1, v1
	v_lshl_or_b32 v0, s2, 10, v0
	v_cmp_gt_i32_e32 vcc, s10, v0
	s_waitcnt lgkmcnt(0)
	v_readfirstlane_b32 s2, v1
	s_cmp_gt_i32 s2, -1
	s_cselect_b64 s[2:3], -1, 0
	s_and_b64 s[2:3], s[2:3], vcc
	s_and_saveexec_b64 s[4:5], s[2:3]
	s_cbranch_execz .LBB7_17
; %bb.15:
	s_abs_i32 s2, s10
	v_cvt_f32_u32_e32 v2, s2
	s_sub_i32 s5, 0, s2
	s_abs_i32 s4, s8
	s_ashr_i32 s3, s8, 31
	v_rcp_iflag_f32_e32 v2, v2
	s_nop 0
	v_mul_f32_e32 v2, 0x4f7ffffe, v2
	v_cvt_u32_f32_e32 v2, v2
	s_nop 0
	v_readfirstlane_b32 s6, v2
	s_mul_i32 s5, s5, s6
	s_mul_hi_u32 s5, s6, s5
	s_add_i32 s6, s6, s5
	s_mul_hi_u32 s5, s4, s6
	s_mul_i32 s5, s5, s2
	s_sub_i32 s4, s4, s5
	s_sub_i32 s5, s4, s2
	s_cmp_ge_u32 s4, s2
	s_cselect_b32 s4, s5, s4
	s_sub_i32 s5, s4, s2
	s_cmp_ge_u32 s4, s2
	s_cselect_b32 s2, s5, s4
	s_xor_b32 s2, s2, s3
	s_sub_i32 s4, s2, s3
	s_cmp_gt_i32 s4, 0
	s_cselect_b64 s[2:3], -1, 0
	v_cmp_le_i32_e32 vcc, s4, v0
	s_and_b64 s[2:3], s[2:3], vcc
	s_and_b64 exec, exec, s[2:3]
	s_cbranch_execz .LBB7_17
; %bb.16:
	s_load_dwordx2 s[2:3], s[0:1], 0x28
	s_load_dwordx4 s[4:7], s[0:1], 0x10
	v_mul_lo_u32 v1, v1, s10
	v_add_u32_e32 v1, v1, v0
	v_mad_u64_u32 v[0:1], s[0:1], v1, s10, v[0:1]
	v_ashrrev_i32_e32 v1, 31, v0
	s_waitcnt lgkmcnt(0)
	v_mov_b64_e32 v[2:3], s[4:5]
	v_lshl_add_u64 v[0:1], v[0:1], 4, s[2:3]
	v_mov_b64_e32 v[4:5], s[6:7]
	global_store_dwordx4 v[0:1], v[2:5], off
.LBB7_17:
	s_endpgm
	.section	.rodata,"a",@progbits
	.p2align	6, 0x0
	.amdhsa_kernel _ZN9rocsparseL28bsrpad_value_kernel_unsortedILi1024E21rocsparse_complex_numIdEEEviiiT0_21rocsparse_index_base_PS3_PKiS7_
		.amdhsa_group_segment_fixed_size 4
		.amdhsa_private_segment_fixed_size 0
		.amdhsa_kernarg_size 64
		.amdhsa_user_sgpr_count 2
		.amdhsa_user_sgpr_dispatch_ptr 0
		.amdhsa_user_sgpr_queue_ptr 0
		.amdhsa_user_sgpr_kernarg_segment_ptr 1
		.amdhsa_user_sgpr_dispatch_id 0
		.amdhsa_user_sgpr_kernarg_preload_length 0
		.amdhsa_user_sgpr_kernarg_preload_offset 0
		.amdhsa_user_sgpr_private_segment_size 0
		.amdhsa_uses_dynamic_stack 0
		.amdhsa_enable_private_segment 0
		.amdhsa_system_sgpr_workgroup_id_x 1
		.amdhsa_system_sgpr_workgroup_id_y 0
		.amdhsa_system_sgpr_workgroup_id_z 0
		.amdhsa_system_sgpr_workgroup_info 0
		.amdhsa_system_vgpr_workitem_id 0
		.amdhsa_next_free_vgpr 15
		.amdhsa_next_free_sgpr 22
		.amdhsa_accum_offset 16
		.amdhsa_reserve_vcc 1
		.amdhsa_float_round_mode_32 0
		.amdhsa_float_round_mode_16_64 0
		.amdhsa_float_denorm_mode_32 3
		.amdhsa_float_denorm_mode_16_64 3
		.amdhsa_dx10_clamp 1
		.amdhsa_ieee_mode 1
		.amdhsa_fp16_overflow 0
		.amdhsa_tg_split 0
		.amdhsa_exception_fp_ieee_invalid_op 0
		.amdhsa_exception_fp_denorm_src 0
		.amdhsa_exception_fp_ieee_div_zero 0
		.amdhsa_exception_fp_ieee_overflow 0
		.amdhsa_exception_fp_ieee_underflow 0
		.amdhsa_exception_fp_ieee_inexact 0
		.amdhsa_exception_int_div_zero 0
	.end_amdhsa_kernel
	.section	.text._ZN9rocsparseL28bsrpad_value_kernel_unsortedILi1024E21rocsparse_complex_numIdEEEviiiT0_21rocsparse_index_base_PS3_PKiS7_,"axG",@progbits,_ZN9rocsparseL28bsrpad_value_kernel_unsortedILi1024E21rocsparse_complex_numIdEEEviiiT0_21rocsparse_index_base_PS3_PKiS7_,comdat
.Lfunc_end7:
	.size	_ZN9rocsparseL28bsrpad_value_kernel_unsortedILi1024E21rocsparse_complex_numIdEEEviiiT0_21rocsparse_index_base_PS3_PKiS7_, .Lfunc_end7-_ZN9rocsparseL28bsrpad_value_kernel_unsortedILi1024E21rocsparse_complex_numIdEEEviiiT0_21rocsparse_index_base_PS3_PKiS7_
                                        ; -- End function
	.set _ZN9rocsparseL28bsrpad_value_kernel_unsortedILi1024E21rocsparse_complex_numIdEEEviiiT0_21rocsparse_index_base_PS3_PKiS7_.num_vgpr, 15
	.set _ZN9rocsparseL28bsrpad_value_kernel_unsortedILi1024E21rocsparse_complex_numIdEEEviiiT0_21rocsparse_index_base_PS3_PKiS7_.num_agpr, 0
	.set _ZN9rocsparseL28bsrpad_value_kernel_unsortedILi1024E21rocsparse_complex_numIdEEEviiiT0_21rocsparse_index_base_PS3_PKiS7_.numbered_sgpr, 22
	.set _ZN9rocsparseL28bsrpad_value_kernel_unsortedILi1024E21rocsparse_complex_numIdEEEviiiT0_21rocsparse_index_base_PS3_PKiS7_.num_named_barrier, 0
	.set _ZN9rocsparseL28bsrpad_value_kernel_unsortedILi1024E21rocsparse_complex_numIdEEEviiiT0_21rocsparse_index_base_PS3_PKiS7_.private_seg_size, 0
	.set _ZN9rocsparseL28bsrpad_value_kernel_unsortedILi1024E21rocsparse_complex_numIdEEEviiiT0_21rocsparse_index_base_PS3_PKiS7_.uses_vcc, 1
	.set _ZN9rocsparseL28bsrpad_value_kernel_unsortedILi1024E21rocsparse_complex_numIdEEEviiiT0_21rocsparse_index_base_PS3_PKiS7_.uses_flat_scratch, 0
	.set _ZN9rocsparseL28bsrpad_value_kernel_unsortedILi1024E21rocsparse_complex_numIdEEEviiiT0_21rocsparse_index_base_PS3_PKiS7_.has_dyn_sized_stack, 0
	.set _ZN9rocsparseL28bsrpad_value_kernel_unsortedILi1024E21rocsparse_complex_numIdEEEviiiT0_21rocsparse_index_base_PS3_PKiS7_.has_recursion, 0
	.set _ZN9rocsparseL28bsrpad_value_kernel_unsortedILi1024E21rocsparse_complex_numIdEEEviiiT0_21rocsparse_index_base_PS3_PKiS7_.has_indirect_call, 0
	.section	.AMDGPU.csdata,"",@progbits
; Kernel info:
; codeLenInByte = 820
; TotalNumSgprs: 28
; NumVgprs: 15
; NumAgprs: 0
; TotalNumVgprs: 15
; ScratchSize: 0
; MemoryBound: 0
; FloatMode: 240
; IeeeMode: 1
; LDSByteSize: 4 bytes/workgroup (compile time only)
; SGPRBlocks: 3
; VGPRBlocks: 1
; NumSGPRsForWavesPerEU: 28
; NumVGPRsForWavesPerEU: 15
; AccumOffset: 16
; Occupancy: 8
; WaveLimiterHint : 0
; COMPUTE_PGM_RSRC2:SCRATCH_EN: 0
; COMPUTE_PGM_RSRC2:USER_SGPR: 2
; COMPUTE_PGM_RSRC2:TRAP_HANDLER: 0
; COMPUTE_PGM_RSRC2:TGID_X_EN: 1
; COMPUTE_PGM_RSRC2:TGID_Y_EN: 0
; COMPUTE_PGM_RSRC2:TGID_Z_EN: 0
; COMPUTE_PGM_RSRC2:TIDIG_COMP_CNT: 0
; COMPUTE_PGM_RSRC3_GFX90A:ACCUM_OFFSET: 3
; COMPUTE_PGM_RSRC3_GFX90A:TG_SPLIT: 0
	.section	.AMDGPU.gpr_maximums,"",@progbits
	.set amdgpu.max_num_vgpr, 0
	.set amdgpu.max_num_agpr, 0
	.set amdgpu.max_num_sgpr, 0
	.section	.AMDGPU.csdata,"",@progbits
	.type	__hip_cuid_93495e32a30d5ae3,@object ; @__hip_cuid_93495e32a30d5ae3
	.section	.bss,"aw",@nobits
	.globl	__hip_cuid_93495e32a30d5ae3
__hip_cuid_93495e32a30d5ae3:
	.byte	0                               ; 0x0
	.size	__hip_cuid_93495e32a30d5ae3, 1

	.ident	"AMD clang version 22.0.0git (https://github.com/RadeonOpenCompute/llvm-project roc-7.2.4 26084 f58b06dce1f9c15707c5f808fd002e18c2accf7e)"
	.section	".note.GNU-stack","",@progbits
	.addrsig
	.addrsig_sym __hip_cuid_93495e32a30d5ae3
	.amdgpu_metadata
---
amdhsa.kernels:
  - .agpr_count:     0
    .args:
      - .offset:         0
        .size:           4
        .value_kind:     by_value
      - .offset:         4
        .size:           4
        .value_kind:     by_value
      - .offset:         8
        .size:           4
        .value_kind:     by_value
      - .offset:         12
        .size:           4
        .value_kind:     by_value
      - .offset:         16
        .size:           4
        .value_kind:     by_value
      - .actual_access:  write_only
        .address_space:  global
        .offset:         24
        .size:           8
        .value_kind:     global_buffer
      - .actual_access:  read_only
        .address_space:  global
        .offset:         32
        .size:           8
        .value_kind:     global_buffer
      - .actual_access:  read_only
        .address_space:  global
        .offset:         40
        .size:           8
        .value_kind:     global_buffer
    .group_segment_fixed_size: 0
    .kernarg_segment_align: 8
    .kernarg_segment_size: 48
    .language:       OpenCL C
    .language_version:
      - 2
      - 0
    .max_flat_workgroup_size: 1024
    .name:           _ZN9rocsparseL26bsrpad_value_kernel_sortedILi1024EfEEviiiT0_21rocsparse_index_base_PS1_PKiS5_
    .private_segment_fixed_size: 0
    .sgpr_count:     22
    .sgpr_spill_count: 0
    .symbol:         _ZN9rocsparseL26bsrpad_value_kernel_sortedILi1024EfEEviiiT0_21rocsparse_index_base_PS1_PKiS5_.kd
    .uniform_work_group_size: 1
    .uses_dynamic_stack: false
    .vgpr_count:     3
    .vgpr_spill_count: 0
    .wavefront_size: 64
  - .agpr_count:     0
    .args:
      - .offset:         0
        .size:           4
        .value_kind:     by_value
      - .offset:         4
        .size:           4
        .value_kind:     by_value
      - .offset:         8
        .size:           4
        .value_kind:     by_value
      - .offset:         12
        .size:           4
        .value_kind:     by_value
      - .offset:         16
        .size:           4
        .value_kind:     by_value
      - .actual_access:  write_only
        .address_space:  global
        .offset:         24
        .size:           8
        .value_kind:     global_buffer
      - .actual_access:  read_only
        .address_space:  global
        .offset:         32
        .size:           8
        .value_kind:     global_buffer
      - .actual_access:  read_only
        .address_space:  global
        .offset:         40
        .size:           8
        .value_kind:     global_buffer
    .group_segment_fixed_size: 4
    .kernarg_segment_align: 8
    .kernarg_segment_size: 48
    .language:       OpenCL C
    .language_version:
      - 2
      - 0
    .max_flat_workgroup_size: 1024
    .name:           _ZN9rocsparseL28bsrpad_value_kernel_unsortedILi1024EfEEviiiT0_21rocsparse_index_base_PS1_PKiS5_
    .private_segment_fixed_size: 0
    .sgpr_count:     30
    .sgpr_spill_count: 0
    .symbol:         _ZN9rocsparseL28bsrpad_value_kernel_unsortedILi1024EfEEviiiT0_21rocsparse_index_base_PS1_PKiS5_.kd
    .uniform_work_group_size: 1
    .uses_dynamic_stack: false
    .vgpr_count:     15
    .vgpr_spill_count: 0
    .wavefront_size: 64
  - .agpr_count:     0
    .args:
      - .offset:         0
        .size:           4
        .value_kind:     by_value
      - .offset:         4
        .size:           4
        .value_kind:     by_value
      - .offset:         8
        .size:           4
        .value_kind:     by_value
      - .offset:         16
        .size:           8
        .value_kind:     by_value
      - .offset:         24
        .size:           4
        .value_kind:     by_value
      - .actual_access:  write_only
        .address_space:  global
        .offset:         32
        .size:           8
        .value_kind:     global_buffer
      - .actual_access:  read_only
        .address_space:  global
        .offset:         40
        .size:           8
        .value_kind:     global_buffer
      - .actual_access:  read_only
        .address_space:  global
        .offset:         48
        .size:           8
        .value_kind:     global_buffer
    .group_segment_fixed_size: 0
    .kernarg_segment_align: 8
    .kernarg_segment_size: 56
    .language:       OpenCL C
    .language_version:
      - 2
      - 0
    .max_flat_workgroup_size: 1024
    .name:           _ZN9rocsparseL26bsrpad_value_kernel_sortedILi1024EdEEviiiT0_21rocsparse_index_base_PS1_PKiS5_
    .private_segment_fixed_size: 0
    .sgpr_count:     20
    .sgpr_spill_count: 0
    .symbol:         _ZN9rocsparseL26bsrpad_value_kernel_sortedILi1024EdEEviiiT0_21rocsparse_index_base_PS1_PKiS5_.kd
    .uniform_work_group_size: 1
    .uses_dynamic_stack: false
    .vgpr_count:     4
    .vgpr_spill_count: 0
    .wavefront_size: 64
  - .agpr_count:     0
    .args:
      - .offset:         0
        .size:           4
        .value_kind:     by_value
      - .offset:         4
        .size:           4
        .value_kind:     by_value
      - .offset:         8
        .size:           4
        .value_kind:     by_value
      - .offset:         16
        .size:           8
        .value_kind:     by_value
      - .offset:         24
        .size:           4
        .value_kind:     by_value
      - .actual_access:  write_only
        .address_space:  global
        .offset:         32
        .size:           8
        .value_kind:     global_buffer
      - .actual_access:  read_only
        .address_space:  global
        .offset:         40
        .size:           8
        .value_kind:     global_buffer
      - .actual_access:  read_only
        .address_space:  global
        .offset:         48
        .size:           8
        .value_kind:     global_buffer
    .group_segment_fixed_size: 4
    .kernarg_segment_align: 8
    .kernarg_segment_size: 56
    .language:       OpenCL C
    .language_version:
      - 2
      - 0
    .max_flat_workgroup_size: 1024
    .name:           _ZN9rocsparseL28bsrpad_value_kernel_unsortedILi1024EdEEviiiT0_21rocsparse_index_base_PS1_PKiS5_
    .private_segment_fixed_size: 0
    .sgpr_count:     28
    .sgpr_spill_count: 0
    .symbol:         _ZN9rocsparseL28bsrpad_value_kernel_unsortedILi1024EdEEviiiT0_21rocsparse_index_base_PS1_PKiS5_.kd
    .uniform_work_group_size: 1
    .uses_dynamic_stack: false
    .vgpr_count:     15
    .vgpr_spill_count: 0
    .wavefront_size: 64
  - .agpr_count:     0
    .args:
      - .offset:         0
        .size:           4
        .value_kind:     by_value
      - .offset:         4
        .size:           4
        .value_kind:     by_value
      - .offset:         8
        .size:           4
        .value_kind:     by_value
      - .offset:         12
        .size:           8
        .value_kind:     by_value
      - .offset:         20
        .size:           4
        .value_kind:     by_value
      - .actual_access:  write_only
        .address_space:  global
        .offset:         24
        .size:           8
        .value_kind:     global_buffer
      - .actual_access:  read_only
        .address_space:  global
        .offset:         32
        .size:           8
        .value_kind:     global_buffer
      - .actual_access:  read_only
        .address_space:  global
        .offset:         40
        .size:           8
        .value_kind:     global_buffer
    .group_segment_fixed_size: 0
    .kernarg_segment_align: 8
    .kernarg_segment_size: 48
    .language:       OpenCL C
    .language_version:
      - 2
      - 0
    .max_flat_workgroup_size: 1024
    .name:           _ZN9rocsparseL26bsrpad_value_kernel_sortedILi1024E21rocsparse_complex_numIfEEEviiiT0_21rocsparse_index_base_PS3_PKiS7_
    .private_segment_fixed_size: 0
    .sgpr_count:     20
    .sgpr_spill_count: 0
    .symbol:         _ZN9rocsparseL26bsrpad_value_kernel_sortedILi1024E21rocsparse_complex_numIfEEEviiiT0_21rocsparse_index_base_PS3_PKiS7_.kd
    .uniform_work_group_size: 1
    .uses_dynamic_stack: false
    .vgpr_count:     4
    .vgpr_spill_count: 0
    .wavefront_size: 64
  - .agpr_count:     0
    .args:
      - .offset:         0
        .size:           4
        .value_kind:     by_value
      - .offset:         4
        .size:           4
        .value_kind:     by_value
      - .offset:         8
        .size:           4
        .value_kind:     by_value
      - .offset:         12
        .size:           8
        .value_kind:     by_value
      - .offset:         20
        .size:           4
        .value_kind:     by_value
      - .actual_access:  write_only
        .address_space:  global
        .offset:         24
        .size:           8
        .value_kind:     global_buffer
      - .actual_access:  read_only
        .address_space:  global
        .offset:         32
        .size:           8
        .value_kind:     global_buffer
      - .actual_access:  read_only
        .address_space:  global
        .offset:         40
        .size:           8
        .value_kind:     global_buffer
    .group_segment_fixed_size: 4
    .kernarg_segment_align: 8
    .kernarg_segment_size: 48
    .language:       OpenCL C
    .language_version:
      - 2
      - 0
    .max_flat_workgroup_size: 1024
    .name:           _ZN9rocsparseL28bsrpad_value_kernel_unsortedILi1024E21rocsparse_complex_numIfEEEviiiT0_21rocsparse_index_base_PS3_PKiS7_
    .private_segment_fixed_size: 0
    .sgpr_count:     28
    .sgpr_spill_count: 0
    .symbol:         _ZN9rocsparseL28bsrpad_value_kernel_unsortedILi1024E21rocsparse_complex_numIfEEEviiiT0_21rocsparse_index_base_PS3_PKiS7_.kd
    .uniform_work_group_size: 1
    .uses_dynamic_stack: false
    .vgpr_count:     15
    .vgpr_spill_count: 0
    .wavefront_size: 64
  - .agpr_count:     0
    .args:
      - .offset:         0
        .size:           4
        .value_kind:     by_value
      - .offset:         4
        .size:           4
        .value_kind:     by_value
      - .offset:         8
        .size:           4
        .value_kind:     by_value
      - .offset:         16
        .size:           16
        .value_kind:     by_value
      - .offset:         32
        .size:           4
        .value_kind:     by_value
      - .actual_access:  write_only
        .address_space:  global
        .offset:         40
        .size:           8
        .value_kind:     global_buffer
      - .actual_access:  read_only
        .address_space:  global
        .offset:         48
        .size:           8
        .value_kind:     global_buffer
      - .actual_access:  read_only
        .address_space:  global
        .offset:         56
        .size:           8
        .value_kind:     global_buffer
    .group_segment_fixed_size: 0
    .kernarg_segment_align: 8
    .kernarg_segment_size: 64
    .language:       OpenCL C
    .language_version:
      - 2
      - 0
    .max_flat_workgroup_size: 1024
    .name:           _ZN9rocsparseL26bsrpad_value_kernel_sortedILi1024E21rocsparse_complex_numIdEEEviiiT0_21rocsparse_index_base_PS3_PKiS7_
    .private_segment_fixed_size: 0
    .sgpr_count:     20
    .sgpr_spill_count: 0
    .symbol:         _ZN9rocsparseL26bsrpad_value_kernel_sortedILi1024E21rocsparse_complex_numIdEEEviiiT0_21rocsparse_index_base_PS3_PKiS7_.kd
    .uniform_work_group_size: 1
    .uses_dynamic_stack: false
    .vgpr_count:     6
    .vgpr_spill_count: 0
    .wavefront_size: 64
  - .agpr_count:     0
    .args:
      - .offset:         0
        .size:           4
        .value_kind:     by_value
      - .offset:         4
        .size:           4
        .value_kind:     by_value
      - .offset:         8
        .size:           4
        .value_kind:     by_value
      - .offset:         16
        .size:           16
        .value_kind:     by_value
      - .offset:         32
        .size:           4
        .value_kind:     by_value
      - .actual_access:  write_only
        .address_space:  global
        .offset:         40
        .size:           8
        .value_kind:     global_buffer
      - .actual_access:  read_only
        .address_space:  global
        .offset:         48
        .size:           8
        .value_kind:     global_buffer
      - .actual_access:  read_only
        .address_space:  global
        .offset:         56
        .size:           8
        .value_kind:     global_buffer
    .group_segment_fixed_size: 4
    .kernarg_segment_align: 8
    .kernarg_segment_size: 64
    .language:       OpenCL C
    .language_version:
      - 2
      - 0
    .max_flat_workgroup_size: 1024
    .name:           _ZN9rocsparseL28bsrpad_value_kernel_unsortedILi1024E21rocsparse_complex_numIdEEEviiiT0_21rocsparse_index_base_PS3_PKiS7_
    .private_segment_fixed_size: 0
    .sgpr_count:     28
    .sgpr_spill_count: 0
    .symbol:         _ZN9rocsparseL28bsrpad_value_kernel_unsortedILi1024E21rocsparse_complex_numIdEEEviiiT0_21rocsparse_index_base_PS3_PKiS7_.kd
    .uniform_work_group_size: 1
    .uses_dynamic_stack: false
    .vgpr_count:     15
    .vgpr_spill_count: 0
    .wavefront_size: 64
amdhsa.target:   amdgcn-amd-amdhsa--gfx950
amdhsa.version:
  - 1
  - 2
...

	.end_amdgpu_metadata
